;; amdgpu-corpus repo=ROCm/rocFFT kind=compiled arch=gfx950 opt=O3
	.text
	.amdgcn_target "amdgcn-amd-amdhsa--gfx950"
	.amdhsa_code_object_version 6
	.protected	bluestein_single_fwd_len1309_dim1_sp_op_CI_CI ; -- Begin function bluestein_single_fwd_len1309_dim1_sp_op_CI_CI
	.globl	bluestein_single_fwd_len1309_dim1_sp_op_CI_CI
	.p2align	8
	.type	bluestein_single_fwd_len1309_dim1_sp_op_CI_CI,@function
bluestein_single_fwd_len1309_dim1_sp_op_CI_CI: ; @bluestein_single_fwd_len1309_dim1_sp_op_CI_CI
; %bb.0:
	s_load_dwordx4 s[4:7], s[0:1], 0x28
	v_mul_u32_u24_e32 v1, 0x227, v0
	v_add_u32_sdwa v2, s2, v1 dst_sel:DWORD dst_unused:UNUSED_PAD src0_sel:DWORD src1_sel:WORD_1
	v_mov_b32_e32 v3, 0
	v_accvgpr_write_b32 a0, v2
	s_waitcnt lgkmcnt(0)
	v_cmp_gt_u64_e32 vcc, s[4:5], v[2:3]
	s_and_saveexec_b64 s[2:3], vcc
	s_cbranch_execz .LBB0_23
; %bb.1:
	s_load_dwordx2 s[12:13], s[0:1], 0x0
	s_load_dwordx2 s[14:15], s[0:1], 0x38
	s_movk_i32 s2, 0x77
	v_mul_lo_u16_sdwa v1, v1, s2 dst_sel:DWORD dst_unused:UNUSED_PAD src0_sel:WORD_1 src1_sel:DWORD
	v_sub_u16_e32 v71, v0, v1
	s_movk_i32 s2, 0x4d
	v_cmp_gt_u16_e64 s[4:5], s2, v71
	v_lshlrev_b32_e32 v88, 3, v71
	s_and_saveexec_b64 s[2:3], s[4:5]
	s_cbranch_execz .LBB0_3
; %bb.2:
	s_load_dwordx2 s[8:9], s[0:1], 0x18
	v_accvgpr_read_b32 v10, a0
	v_mov_b32_e32 v0, s6
	v_mov_b32_e32 v1, s7
	;; [unrolled: 1-line block ×3, first 2 shown]
	s_waitcnt lgkmcnt(0)
	s_load_dwordx4 s[8:11], s[8:9], 0x0
	v_mov_b32_e32 v89, 0
	v_lshl_add_u64 v[24:25], s[12:13], 0, v[88:89]
	s_waitcnt lgkmcnt(0)
	v_mad_u64_u32 v[2:3], s[6:7], s10, v10, 0
	v_mad_u64_u32 v[4:5], s[6:7], s8, v71, 0
	v_mov_b32_e32 v6, v3
	v_mov_b32_e32 v8, v5
	v_mad_u64_u32 v[6:7], s[6:7], s11, v10, v[6:7]
	v_mov_b32_e32 v3, v6
	v_mad_u64_u32 v[6:7], s[6:7], s9, v71, v[8:9]
	v_mov_b32_e32 v5, v6
	v_lshl_add_u64 v[0:1], v[2:3], 3, v[0:1]
	v_lshl_add_u64 v[2:3], v[4:5], 3, v[0:1]
	v_mad_u64_u32 v[12:13], s[6:7], s8, v70, v[2:3]
	s_mul_i32 s6, s9, 0x268
	s_nop 0
	v_add_u32_e32 v13, s6, v13
	v_mad_u64_u32 v[14:15], s[10:11], s8, v70, v[12:13]
	v_add_u32_e32 v15, s6, v15
	v_mad_u64_u32 v[22:23], s[10:11], s8, v70, v[14:15]
	v_add_u32_e32 v23, s6, v23
	global_load_dwordx2 v[0:1], v[2:3], off
	s_nop 0
	global_load_dwordx2 v[2:3], v88, s[12:13]
	global_load_dwordx2 v[4:5], v88, s[12:13] offset:616
	global_load_dwordx2 v[10:11], v[12:13], off
	global_load_dwordx2 v[8:9], v[14:15], off
	;; [unrolled: 1-line block ×3, first 2 shown]
	v_mad_u64_u32 v[22:23], s[10:11], s8, v70, v[22:23]
	v_add_u32_e32 v23, s6, v23
	global_load_dwordx2 v[14:15], v88, s[12:13] offset:1232
	global_load_dwordx2 v[12:13], v88, s[12:13] offset:1848
	;; [unrolled: 1-line block ×5, first 2 shown]
	global_load_dwordx2 v[28:29], v[22:23], off
	v_mad_u64_u32 v[22:23], s[10:11], s8, v70, v[22:23]
	v_add_u32_e32 v23, s6, v23
	global_load_dwordx2 v[30:31], v[22:23], off
	v_mad_u64_u32 v[22:23], s[10:11], s8, v70, v[22:23]
	v_add_u32_e32 v23, s6, v23
	s_movk_i32 s7, 0x1000
	global_load_dwordx2 v[32:33], v[22:23], off
	v_mad_u64_u32 v[22:23], s[10:11], s8, v70, v[22:23]
	v_add_co_u32_e32 v26, vcc, s7, v24
	v_add_u32_e32 v23, s6, v23
	s_nop 0
	v_addc_co_u32_e32 v27, vcc, 0, v25, vcc
	global_load_dwordx2 v[34:35], v[22:23], off
	global_load_dwordx2 v[36:37], v[26:27], off offset:216
	global_load_dwordx2 v[38:39], v[26:27], off offset:832
	global_load_dwordx2 v[40:41], v[26:27], off offset:1448
	global_load_dwordx2 v[42:43], v[26:27], off offset:2064
	v_mad_u64_u32 v[22:23], s[10:11], s8, v70, v[22:23]
	v_add_u32_e32 v23, s6, v23
	s_movk_i32 s9, 0x2000
	global_load_dwordx2 v[44:45], v[22:23], off
	v_mad_u64_u32 v[22:23], s[10:11], s8, v70, v[22:23]
	v_add_co_u32_e32 v24, vcc, s9, v24
	v_add_u32_e32 v23, s6, v23
	s_nop 0
	v_addc_co_u32_e32 v25, vcc, 0, v25, vcc
	global_load_dwordx2 v[46:47], v[22:23], off
	global_load_dwordx2 v[48:49], v[24:25], off offset:1048
	v_mad_u64_u32 v[22:23], s[10:11], s8, v70, v[22:23]
	v_add_u32_e32 v23, s6, v23
	global_load_dwordx2 v[50:51], v[22:23], off
	v_mad_u64_u32 v[22:23], s[10:11], s8, v70, v[22:23]
	v_add_u32_e32 v23, s6, v23
	global_load_dwordx2 v[52:53], v[22:23], off
	global_load_dwordx2 v[54:55], v[26:27], off offset:2680
	v_mad_u64_u32 v[22:23], s[10:11], s8, v70, v[22:23]
	v_add_u32_e32 v23, s6, v23
	global_load_dwordx2 v[56:57], v[22:23], off
	global_load_dwordx2 v[58:59], v[26:27], off offset:3296
	;; [unrolled: 4-line block ×5, first 2 shown]
	v_mad_u64_u32 v[22:23], s[8:9], s8, v70, v[22:23]
	v_add_u32_e32 v23, s6, v23
	global_load_dwordx2 v[22:23], v[22:23], off
	s_waitcnt vmcnt(32)
	v_mul_f32_e32 v24, v0, v3
	v_fma_f32 v25, v1, v2, -v24
	v_mul_f32_e32 v24, v1, v3
	v_fmac_f32_e32 v24, v0, v2
	s_waitcnt vmcnt(30)
	v_mul_f32_e32 v0, v10, v5
	v_fma_f32 v1, v11, v4, -v0
	v_mul_f32_e32 v0, v11, v5
	v_fmac_f32_e32 v0, v10, v4
	ds_write2_b64 v88, v[24:25], v[0:1] offset1:77
	s_waitcnt vmcnt(27)
	v_mul_f32_e32 v0, v9, v15
	v_mul_f32_e32 v1, v8, v15
	s_waitcnt vmcnt(26)
	v_mul_f32_e32 v2, v7, v13
	v_mul_f32_e32 v3, v6, v13
	v_fmac_f32_e32 v0, v8, v14
	v_fma_f32 v1, v9, v14, -v1
	v_fmac_f32_e32 v2, v6, v12
	v_fma_f32 v3, v7, v12, -v3
	ds_write2_b64 v88, v[0:1], v[2:3] offset0:154 offset1:231
	s_waitcnt vmcnt(22)
	v_mul_f32_e32 v0, v29, v17
	v_mul_f32_e32 v1, v28, v17
	s_waitcnt vmcnt(21)
	v_mul_f32_e32 v2, v31, v19
	v_mul_f32_e32 v3, v30, v19
	v_fmac_f32_e32 v0, v28, v16
	v_fma_f32 v1, v29, v16, -v1
	v_fmac_f32_e32 v2, v30, v18
	v_fma_f32 v3, v31, v18, -v3
	v_add_u32_e32 v4, 0x800, v88
	ds_write2_b64 v4, v[0:1], v[2:3] offset0:52 offset1:129
	s_waitcnt vmcnt(20)
	v_mul_f32_e32 v0, v33, v21
	v_mul_f32_e32 v1, v32, v21
	s_waitcnt vmcnt(18)
	v_mul_f32_e32 v2, v35, v37
	v_mul_f32_e32 v3, v34, v37
	v_fmac_f32_e32 v0, v32, v20
	v_fma_f32 v1, v33, v20, -v1
	v_fmac_f32_e32 v2, v34, v36
	v_fma_f32 v3, v35, v36, -v3
	v_add_u32_e32 v4, 0xc00, v88
	;; [unrolled: 12-line block ×4, first 2 shown]
	ds_write2_b64 v4, v[0:1], v[2:3] offset0:2 offset1:79
	s_waitcnt vmcnt(7)
	v_mul_f32_e32 v0, v57, v59
	v_mul_f32_e32 v1, v56, v59
	s_waitcnt vmcnt(5)
	v_mul_f32_e32 v2, v61, v63
	v_mul_f32_e32 v3, v60, v63
	v_fmac_f32_e32 v0, v56, v58
	v_fma_f32 v1, v57, v58, -v1
	v_fmac_f32_e32 v2, v60, v62
	v_fma_f32 v3, v61, v62, -v3
	ds_write2_b64 v4, v[0:1], v[2:3] offset0:156 offset1:233
	s_waitcnt vmcnt(3)
	v_mul_f32_e32 v0, v27, v65
	v_mul_f32_e32 v1, v26, v65
	s_waitcnt vmcnt(2)
	v_mul_f32_e32 v2, v67, v49
	v_mul_f32_e32 v3, v66, v49
	v_fmac_f32_e32 v0, v26, v64
	v_fma_f32 v1, v27, v64, -v1
	v_fmac_f32_e32 v2, v66, v48
	v_fma_f32 v3, v67, v48, -v3
	v_add_u32_e32 v4, 0x2000, v88
	ds_write2_b64 v4, v[0:1], v[2:3] offset0:54 offset1:131
	s_waitcnt vmcnt(0)
	v_mul_f32_e32 v0, v23, v69
	v_mul_f32_e32 v1, v22, v69
	v_fmac_f32_e32 v0, v22, v68
	v_fma_f32 v1, v23, v68, -v1
	ds_write_b64 v88, v[0:1] offset:9856
.LBB0_3:
	s_or_b64 exec, exec, s[2:3]
	v_accvgpr_write_b32 a1, v71
	v_mov_b32_e32 v4, 0
	v_mov_b32_e32 v5, 0
	s_waitcnt lgkmcnt(0)
	s_barrier
	s_waitcnt lgkmcnt(0)
                                        ; implicit-def: $vgpr10
                                        ; implicit-def: $vgpr16
                                        ; implicit-def: $vgpr14
                                        ; implicit-def: $vgpr24
                                        ; implicit-def: $vgpr22
                                        ; implicit-def: $vgpr34
                                        ; implicit-def: $vgpr28
                                        ; implicit-def: $vgpr36
	s_and_saveexec_b64 s[2:3], s[4:5]
	s_cbranch_execz .LBB0_5
; %bb.4:
	v_add_u32_e32 v0, 0x800, v88
	ds_read2_b64 v[4:7], v88 offset1:77
	ds_read2_b64 v[28:31], v88 offset0:154 offset1:231
	ds_read2_b64 v[20:23], v0 offset0:52 offset1:129
	v_add_u32_e32 v0, 0xc00, v88
	ds_read2_b64 v[12:15], v0 offset0:78 offset1:155
	v_add_u32_e32 v0, 0x1000, v88
	;; [unrolled: 2-line block ×3, first 2 shown]
	ds_read2_b64 v[16:19], v0 offset0:2 offset1:79
	ds_read2_b64 v[24:27], v0 offset0:156 offset1:233
	v_add_u32_e32 v0, 0x2000, v88
	ds_read2_b64 v[32:35], v0 offset0:54 offset1:131
	ds_read_b64 v[36:37], v88 offset:9856
.LBB0_5:
	s_or_b64 exec, exec, s[2:3]
	s_waitcnt lgkmcnt(0)
	v_pk_add_f32 v[120:121], v[6:7], v[36:37] neg_lo:[0,1] neg_hi:[0,1]
	s_mov_b32 s20, 0xbf2c7751
	v_pk_add_f32 v[118:119], v[36:37], v[6:7]
	v_pk_add_f32 v[122:123], v[28:29], v[34:35] neg_lo:[0,1] neg_hi:[0,1]
	s_mov_b32 s8, 0x3f3d2fb0
	v_pk_mul_f32 v[0:1], v[120:121], s[20:21] op_sel_hi:[1,0]
	s_mov_b32 s6, 0xbf7ee86f
	v_pk_add_f32 v[116:117], v[34:35], v[28:29]
	v_pk_fma_f32 v[42:43], v[118:119], s[8:9], v[0:1] op_sel:[0,0,1] op_sel_hi:[1,0,0]
	v_pk_fma_f32 v[38:39], v[118:119], s[8:9], v[0:1] op_sel:[0,0,1] op_sel_hi:[1,0,0] neg_lo:[0,0,1] neg_hi:[0,0,1]
	s_mov_b32 s2, 0x3dbcf732
	v_pk_mul_f32 v[0:1], v[122:123], s[6:7] op_sel_hi:[1,0]
	s_mov_b32 s16, 0xbf65296c
	v_pk_fma_f32 v[44:45], v[116:117], s[2:3], v[0:1] op_sel:[0,0,1] op_sel_hi:[1,0,0]
	v_pk_fma_f32 v[40:41], v[116:117], s[2:3], v[0:1] op_sel:[0,0,1] op_sel_hi:[1,0,0] neg_lo:[0,0,1] neg_hi:[0,0,1]
	s_mov_b32 s22, 0xbf4c4adb
	v_mov_b32_e32 v89, v43
	v_mov_b32_e32 v43, v39
	s_mov_b32 s10, 0x3ee437d1
	v_pk_mul_f32 v[0:1], v[120:121], s[16:17] op_sel_hi:[1,0]
	s_mov_b32 s18, 0xbf1a4643
	v_pk_mul_f32 v[2:3], v[122:123], s[22:23] op_sel_hi:[1,0]
	v_pk_add_f32 v[42:43], v[42:43], v[4:5]
	v_accvgpr_write_b32 a3, v45
	v_mov_b32_e32 v45, v41
	v_pk_add_f32 v[44:45], v[44:45], v[42:43]
	v_pk_fma_f32 v[48:49], v[116:117], s[18:19], v[2:3] op_sel:[0,0,1] op_sel_hi:[1,0,0]
	v_pk_fma_f32 v[42:43], v[116:117], s[18:19], v[2:3] op_sel:[0,0,1] op_sel_hi:[1,0,0] neg_lo:[0,0,1] neg_hi:[0,0,1]
	v_pk_fma_f32 v[2:3], v[118:119], s[10:11], v[0:1] op_sel:[0,0,1] op_sel_hi:[1,0,0]
	v_pk_fma_f32 v[46:47], v[118:119], s[10:11], v[0:1] op_sel:[0,0,1] op_sel_hi:[1,0,0] neg_lo:[0,0,1] neg_hi:[0,0,1]
	v_mov_b32_e32 v0, v2
	v_mov_b32_e32 v1, v47
	v_accvgpr_write_b32 a9, v3
	v_pk_add_f32 v[0:1], v[0:1], v[4:5]
	v_mov_b32_e32 v2, v48
	v_mov_b32_e32 v3, v43
	v_pk_add_f32 v[172:173], v[30:31], v[32:33] neg_lo:[0,1] neg_hi:[0,1]
	v_pk_add_f32 v[0:1], v[2:3], v[0:1]
	v_pk_add_f32 v[162:163], v[32:33], v[30:31]
	v_pk_mul_f32 v[2:3], v[172:173], s[22:23] op_sel_hi:[1,0]
	v_mov_b32_e32 v41, v49
	v_pk_fma_f32 v[48:49], v[162:163], s[18:19], v[2:3] op_sel:[0,0,1] op_sel_hi:[1,0,0]
	v_pk_fma_f32 v[56:57], v[162:163], s[18:19], v[2:3] op_sel:[0,0,1] op_sel_hi:[1,0,0] neg_lo:[0,0,1] neg_hi:[0,0,1]
	v_mov_b32_e32 v2, v48
	v_mov_b32_e32 v3, v57
	s_mov_b32 s30, 0x3e3c28d5
	v_pk_add_f32 v[2:3], v[2:3], v[44:45]
	s_mov_b32 s28, 0xbf7ba420
	v_pk_mul_f32 v[44:45], v[172:173], s[30:31] op_sel_hi:[1,0]
	v_accvgpr_write_b32 a7, v49
	v_pk_fma_f32 v[48:49], v[162:163], s[28:29], v[44:45] op_sel:[0,0,1] op_sel_hi:[1,0,0]
	v_pk_fma_f32 v[52:53], v[162:163], s[28:29], v[44:45] op_sel:[0,0,1] op_sel_hi:[1,0,0] neg_lo:[0,0,1] neg_hi:[0,0,1]
	v_mov_b32_e32 v44, v48
	v_mov_b32_e32 v45, v53
	s_mov_b32 s42, 0xbe3c28d5
	v_pk_add_f32 v[186:187], v[20:21], v[26:27] neg_lo:[0,1] neg_hi:[0,1]
	v_pk_add_f32 v[0:1], v[44:45], v[0:1]
	v_pk_add_f32 v[132:133], v[26:27], v[20:21]
	v_pk_mul_f32 v[44:45], v[186:187], s[42:43] op_sel:[1,0] op_sel_hi:[0,0]
	v_mov_b32_e32 v57, v49
	v_pk_fma_f32 v[48:49], v[132:133], s[28:29], v[44:45] op_sel_hi:[1,0,1]
	v_pk_fma_f32 v[68:69], v[132:133], s[28:29], v[44:45] op_sel_hi:[1,0,1] neg_lo:[0,0,1] neg_hi:[0,0,1]
	v_mov_b32_e32 v44, v48
	v_mov_b32_e32 v45, v69
	s_mov_b32 s26, 0x3f763a35
	v_pk_add_f32 v[2:3], v[44:45], v[2:3]
	s_mov_b32 s24, 0xbe8c1d8e
	v_pk_mul_f32 v[44:45], v[186:187], s[26:27] op_sel:[1,0] op_sel_hi:[0,0]
	v_accvgpr_write_b32 a13, v49
	v_pk_fma_f32 v[48:49], v[132:133], s[24:25], v[44:45] op_sel_hi:[1,0,1]
	v_pk_fma_f32 v[64:65], v[132:133], s[24:25], v[44:45] op_sel_hi:[1,0,1] neg_lo:[0,0,1] neg_hi:[0,0,1]
	v_mov_b32_e32 v44, v48
	v_mov_b32_e32 v45, v65
	s_mov_b32 s50, 0x3f06c442
	v_pk_add_f32 v[188:189], v[22:23], v[24:25] neg_lo:[0,1] neg_hi:[0,1]
	v_pk_add_f32 v[0:1], v[44:45], v[0:1]
	s_mov_b32 s40, 0xbf59a7d5
	v_pk_add_f32 v[148:149], v[24:25], v[22:23]
	v_pk_mul_f32 v[44:45], v[188:189], s[50:51] op_sel:[1,0] op_sel_hi:[0,0]
	v_accvgpr_write_b32 a11, v49
	v_pk_fma_f32 v[48:49], v[148:149], s[40:41], v[44:45] op_sel_hi:[1,0,1]
	v_pk_fma_f32 v[78:79], v[148:149], s[40:41], v[44:45] op_sel_hi:[1,0,1] neg_lo:[0,0,1] neg_hi:[0,0,1]
	v_mov_b32_e32 v44, v48
	v_mov_b32_e32 v45, v79
	s_mov_b32 s36, 0x3f2c7751
	v_pk_add_f32 v[2:3], v[44:45], v[2:3]
	v_pk_mul_f32 v[44:45], v[188:189], s[36:37] op_sel:[1,0] op_sel_hi:[0,0]
	v_mov_b32_e32 v65, v49
	v_pk_fma_f32 v[48:49], v[148:149], s[8:9], v[44:45] op_sel_hi:[1,0,1]
	v_pk_fma_f32 v[72:73], v[148:149], s[8:9], v[44:45] op_sel_hi:[1,0,1] neg_lo:[0,0,1] neg_hi:[0,0,1]
	v_mov_b32_e32 v44, v48
	v_mov_b32_e32 v45, v73
	v_pk_add_f32 v[204:205], v[12:13], v[18:19] neg_lo:[0,1] neg_hi:[0,1]
	v_pk_add_f32 v[0:1], v[44:45], v[0:1]
	v_pk_add_f32 v[174:175], v[18:19], v[12:13]
	v_pk_mul_f32 v[44:45], v[204:205], s[26:27] op_sel:[1,0] op_sel_hi:[0,0]
	v_accvgpr_write_b32 a15, v49
	v_pk_fma_f32 v[48:49], v[174:175], s[24:25], v[44:45] op_sel_hi:[1,0,1]
	v_pk_fma_f32 v[94:95], v[174:175], s[24:25], v[44:45] op_sel_hi:[1,0,1] neg_lo:[0,0,1] neg_hi:[0,0,1]
	v_mov_b32_e32 v44, v48
	v_mov_b32_e32 v45, v95
	s_mov_b32 s52, 0xbeb8f4ab
	v_pk_add_f32 v[2:3], v[44:45], v[2:3]
	s_mov_b32 s34, 0x3f6eb680
	v_pk_mul_f32 v[44:45], v[204:205], s[52:53] op_sel:[1,0] op_sel_hi:[0,0]
	v_mov_b32_e32 v73, v49
	v_pk_fma_f32 v[48:49], v[174:175], s[34:35], v[44:45] op_sel_hi:[1,0,1]
	v_pk_fma_f32 v[82:83], v[174:175], s[34:35], v[44:45] op_sel_hi:[1,0,1] neg_lo:[0,0,1] neg_hi:[0,0,1]
	v_mov_b32_e32 v44, v48
	v_mov_b32_e32 v45, v83
	s_mov_b32 s44, 0x3f65296c
	v_pk_add_f32 v[220:221], v[14:15], v[16:17] neg_lo:[0,1] neg_hi:[0,1]
	v_pk_add_f32 v[0:1], v[44:45], v[0:1]
	v_pk_add_f32 v[212:213], v[16:17], v[14:15]
	v_pk_mul_f32 v[44:45], v[220:221], s[44:45] op_sel:[1,0] op_sel_hi:[0,0]
	v_accvgpr_write_b32 a17, v49
	v_pk_fma_f32 v[48:49], v[212:213], s[10:11], v[44:45] op_sel_hi:[1,0,1]
	v_pk_fma_f32 v[106:107], v[212:213], s[10:11], v[44:45] op_sel_hi:[1,0,1] neg_lo:[0,0,1] neg_hi:[0,0,1]
	v_mov_b32_e32 v44, v48
	v_mov_b32_e32 v45, v107
	v_pk_add_f32 v[2:3], v[44:45], v[2:3]
	v_pk_mul_f32 v[44:45], v[220:221], s[6:7] op_sel:[1,0] op_sel_hi:[0,0]
	v_mov_b32_e32 v83, v49
	v_pk_fma_f32 v[48:49], v[212:213], s[2:3], v[44:45] op_sel_hi:[1,0,1]
	v_pk_fma_f32 v[98:99], v[212:213], s[2:3], v[44:45] op_sel_hi:[1,0,1] neg_lo:[0,0,1] neg_hi:[0,0,1]
	v_mov_b32_e32 v44, v48
	v_mov_b32_e32 v45, v99
	s_mov_b32 s38, 0x3eb8f4ab
	v_pk_add_f32 v[206:207], v[8:9], v[10:11] neg_lo:[0,1] neg_hi:[0,1]
	v_pk_add_f32 v[0:1], v[44:45], v[0:1]
	v_pk_add_f32 v[202:203], v[10:11], v[8:9]
	v_pk_mul_f32 v[44:45], v[206:207], s[38:39] op_sel:[1,0] op_sel_hi:[0,0]
	v_accvgpr_write_b32 a19, v49
	v_pk_fma_f32 v[48:49], v[202:203], s[34:35], v[44:45] op_sel_hi:[1,0,1]
	v_pk_fma_f32 v[114:115], v[202:203], s[34:35], v[44:45] op_sel_hi:[1,0,1] neg_lo:[0,0,1] neg_hi:[0,0,1]
	s_mov_b32 s46, 0xbf06c442
	v_mov_b32_e32 v44, v48
	v_mov_b32_e32 v45, v115
	v_pk_add_f32 v[2:3], v[44:45], v[2:3]
	v_pk_mul_f32 v[44:45], v[206:207], s[46:47] op_sel:[1,0] op_sel_hi:[0,0]
	v_mov_b32_e32 v99, v49
	v_pk_fma_f32 v[48:49], v[202:203], s[40:41], v[44:45] op_sel_hi:[1,0,1]
	v_pk_fma_f32 v[110:111], v[202:203], s[40:41], v[44:45] op_sel_hi:[1,0,1] neg_lo:[0,0,1] neg_hi:[0,0,1]
	v_mov_b32_e32 v44, v48
	v_mov_b32_e32 v45, v111
	v_pk_add_f32 v[0:1], v[44:45], v[0:1]
	v_pk_mul_f32 v[44:45], v[120:121], s[52:53] op_sel_hi:[1,0]
	v_accvgpr_write_b32 a21, v49
	v_pk_fma_f32 v[48:49], v[118:119], s[34:35], v[44:45] op_sel:[0,0,1] op_sel_hi:[1,0,0]
	v_pk_fma_f32 v[124:125], v[118:119], s[34:35], v[44:45] op_sel:[0,0,1] op_sel_hi:[1,0,0] neg_lo:[0,0,1] neg_hi:[0,0,1]
	v_mov_b32_e32 v79, v49
	v_mov_b32_e32 v44, v48
	v_pk_mul_f32 v[48:49], v[122:123], s[20:21] op_sel_hi:[1,0]
	v_mov_b32_e32 v45, v125
	v_pk_fma_f32 v[50:51], v[116:117], s[8:9], v[48:49] op_sel:[0,0,1] op_sel_hi:[1,0,0]
	v_pk_fma_f32 v[128:129], v[116:117], s[8:9], v[48:49] op_sel:[0,0,1] op_sel_hi:[1,0,0] neg_lo:[0,0,1] neg_hi:[0,0,1]
	v_pk_add_f32 v[44:45], v[44:45], v[4:5]
	v_mov_b32_e32 v48, v50
	v_mov_b32_e32 v49, v129
	v_pk_add_f32 v[44:45], v[48:49], v[44:45]
	v_pk_mul_f32 v[48:49], v[122:123], s[44:45] op_sel_hi:[1,0]
	v_mov_b32_e32 v69, v51
	v_pk_fma_f32 v[50:51], v[116:117], s[10:11], v[48:49] op_sel:[0,0,1] op_sel_hi:[1,0,0] neg_lo:[0,0,1] neg_hi:[0,0,1]
	v_pk_fma_f32 v[54:55], v[116:117], s[10:11], v[48:49] op_sel:[0,0,1] op_sel_hi:[1,0,0]
	v_pk_mul_f32 v[58:59], v[116:117], s[10:11] op_sel_hi:[1,0]
	v_mov_b32_e32 v51, v55
	v_pk_mul_f32 v[54:55], v[118:119], s[40:41] op_sel_hi:[1,0]
	v_pk_mul_f32 v[60:61], v[120:121], s[46:47] op_sel_hi:[1,0]
	v_mov_b32_e32 v55, v54
	v_mov_b32_e32 v54, v58
	v_pk_fma_f32 v[62:63], v[118:119], s[40:41], v[60:61] op_sel:[0,0,1] op_sel_hi:[1,0,0] neg_lo:[0,0,1] neg_hi:[0,0,1]
	v_pk_fma_f32 v[66:67], v[118:119], s[40:41], v[60:61] op_sel:[0,0,1] op_sel_hi:[1,0,0]
	v_mov_b32_e32 v60, v49
	v_pk_add_f32 v[54:55], v[54:55], v[60:61]
	v_pk_mul_f32 v[60:61], v[162:163], s[2:3] op_sel_hi:[1,0]
	v_mov_b32_e32 v66, v62
	v_mov_b32_e32 v58, v61
	v_pk_mul_f32 v[60:61], v[172:173], s[6:7] op_sel_hi:[1,0]
	s_mov_b32 s48, 0xbf763a35
	v_pk_fma_f32 v[74:75], v[162:163], s[2:3], v[60:61] op_sel:[0,0,1] op_sel_hi:[1,0,0] neg_lo:[0,0,1] neg_hi:[0,0,1]
	v_pk_fma_f32 v[230:231], v[162:163], s[2:3], v[60:61] op_sel:[0,0,1] op_sel_hi:[1,0,0]
	v_mov_b32_e32 v61, v48
	v_pk_add_f32 v[48:49], v[58:59], v[60:61] neg_lo:[0,1] neg_hi:[0,1]
	v_pk_add_f32 v[58:59], v[66:67], v[4:5]
	v_mov_b32_e32 v39, v48
	v_pk_add_f32 v[100:101], v[50:51], v[58:59]
	v_mov_b32_e32 v50, v55
	v_pk_add_f32 v[50:51], v[50:51], v[4:5]
	v_pk_mul_f32 v[242:243], v[174:175], s[40:41] op_sel_hi:[1,0]
	v_pk_add_f32 v[50:51], v[54:55], v[50:51]
	v_pk_mul_f32 v[250:251], v[174:175], s[8:9] op_sel_hi:[1,0]
	v_accvgpr_write_b32 a2, v50
	v_pk_mul_f32 v[50:51], v[172:173], s[16:17] op_sel_hi:[1,0]
	v_pk_mul_f32 v[246:247], v[204:205], s[46:47] op_sel:[1,0] op_sel_hi:[0,0]
	v_pk_fma_f32 v[54:55], v[162:163], s[10:11], v[50:51] op_sel:[0,0,1] op_sel_hi:[1,0,0]
	v_pk_fma_f32 v[144:145], v[162:163], s[10:11], v[50:51] op_sel:[0,0,1] op_sel_hi:[1,0,0] neg_lo:[0,0,1] neg_hi:[0,0,1]
	v_mov_b32_e32 v50, v54
	v_mov_b32_e32 v51, v145
	v_pk_add_f32 v[44:45], v[50:51], v[44:45]
	v_pk_add_f32 v[50:51], v[62:63], v[4:5]
	v_pk_mul_f32 v[252:253], v[204:205], s[20:21] op_sel:[1,0] op_sel_hi:[0,0]
	v_pk_add_f32 v[50:51], v[48:49], v[50:51]
	v_pk_mul_f32 v[48:49], v[186:187], s[6:7] op_sel:[1,0] op_sel_hi:[0,0]
	v_pk_add_f32 v[236:237], v[38:39], v[50:51]
	v_pk_fma_f32 v[50:51], v[132:133], s[2:3], v[48:49] op_sel_hi:[1,0,1]
	v_pk_fma_f32 v[150:151], v[132:133], s[2:3], v[48:49] op_sel_hi:[1,0,1] neg_lo:[0,0,1] neg_hi:[0,0,1]
	v_mov_b32_e32 v48, v50
	v_mov_b32_e32 v49, v151
	v_pk_add_f32 v[44:45], v[48:49], v[44:45]
	v_pk_mul_f32 v[48:49], v[188:189], s[48:49] op_sel:[1,0] op_sel_hi:[0,0]
	v_mov_b32_e32 v107, v51
	v_pk_fma_f32 v[50:51], v[148:149], s[24:25], v[48:49] op_sel_hi:[1,0,1]
	v_pk_fma_f32 v[154:155], v[148:149], s[24:25], v[48:49] op_sel_hi:[1,0,1] neg_lo:[0,0,1] neg_hi:[0,0,1]
	v_mov_b32_e32 v48, v50
	v_mov_b32_e32 v49, v155
	v_pk_add_f32 v[44:45], v[48:49], v[44:45]
	v_pk_mul_f32 v[48:49], v[204:205], s[22:23] op_sel:[1,0] op_sel_hi:[0,0]
	v_mov_b32_e32 v111, v51
	v_pk_fma_f32 v[50:51], v[174:175], s[18:19], v[48:49] op_sel_hi:[1,0,1]
	v_pk_fma_f32 v[158:159], v[174:175], s[18:19], v[48:49] op_sel_hi:[1,0,1] neg_lo:[0,0,1] neg_hi:[0,0,1]
	v_mov_b32_e32 v48, v50
	v_mov_b32_e32 v49, v159
	v_pk_add_f32 v[44:45], v[48:49], v[44:45]
	v_pk_mul_f32 v[48:49], v[220:221], s[46:47] op_sel:[1,0] op_sel_hi:[0,0]
	v_pk_fma_f32 v[166:167], v[212:213], s[40:41], v[48:49] op_sel_hi:[1,0,1]
	v_pk_fma_f32 v[168:169], v[212:213], s[40:41], v[48:49] op_sel_hi:[1,0,1] neg_lo:[0,0,1] neg_hi:[0,0,1]
	v_mov_b32_e32 v48, v166
	v_mov_b32_e32 v49, v169
	v_pk_add_f32 v[44:45], v[48:49], v[44:45]
	v_pk_mul_f32 v[48:49], v[206:207], s[42:43] op_sel:[1,0] op_sel_hi:[0,0]
	v_pk_fma_f32 v[178:179], v[202:203], s[28:29], v[48:49] op_sel_hi:[1,0,1]
	v_pk_fma_f32 v[180:181], v[202:203], s[28:29], v[48:49] op_sel_hi:[1,0,1] neg_lo:[0,0,1] neg_hi:[0,0,1]
	v_mov_b32_e32 v48, v178
	v_mov_b32_e32 v49, v181
	v_pk_add_f32 v[156:157], v[48:49], v[44:45]
	v_pk_mul_f32 v[44:45], v[120:121], s[48:49] op_sel_hi:[1,0]
	v_mov_b32_e32 v115, v51
	v_pk_fma_f32 v[48:49], v[118:119], s[24:25], v[44:45] op_sel:[0,0,1] op_sel_hi:[1,0,0]
	v_pk_fma_f32 v[134:135], v[118:119], s[24:25], v[44:45] op_sel:[0,0,1] op_sel_hi:[1,0,0] neg_lo:[0,0,1] neg_hi:[0,0,1]
	v_accvgpr_write_b32 a23, v49
	v_mov_b32_e32 v44, v48
	v_pk_mul_f32 v[48:49], v[122:123], s[50:51] op_sel_hi:[1,0]
	v_mov_b32_e32 v45, v135
	v_pk_fma_f32 v[50:51], v[116:117], s[40:41], v[48:49] op_sel:[0,0,1] op_sel_hi:[1,0,0]
	v_pk_fma_f32 v[138:139], v[116:117], s[40:41], v[48:49] op_sel:[0,0,1] op_sel_hi:[1,0,0] neg_lo:[0,0,1] neg_hi:[0,0,1]
	v_mov_b32_e32 v48, v50
	v_mov_b32_e32 v49, v139
	v_pk_add_f32 v[44:45], v[44:45], v[4:5]
	s_mov_b32 s50, 0x3f7ee86f
	v_pk_add_f32 v[44:45], v[48:49], v[44:45]
	v_pk_mul_f32 v[48:49], v[172:173], s[36:37] op_sel_hi:[1,0]
	v_accvgpr_write_b32 a25, v51
	v_pk_fma_f32 v[160:161], v[162:163], s[8:9], v[48:49] op_sel:[0,0,1] op_sel_hi:[1,0,0]
	v_pk_fma_f32 v[164:165], v[162:163], s[8:9], v[48:49] op_sel:[0,0,1] op_sel_hi:[1,0,0] neg_lo:[0,0,1] neg_hi:[0,0,1]
	v_mov_b32_e32 v48, v160
	v_mov_b32_e32 v49, v165
	v_pk_add_f32 v[44:45], v[48:49], v[44:45]
	v_pk_mul_f32 v[48:49], v[186:187], s[16:17] op_sel:[1,0] op_sel_hi:[0,0]
	v_pk_fma_f32 v[170:171], v[132:133], s[10:11], v[48:49] op_sel_hi:[1,0,1]
	v_pk_fma_f32 v[176:177], v[132:133], s[10:11], v[48:49] op_sel_hi:[1,0,1] neg_lo:[0,0,1] neg_hi:[0,0,1]
	v_mov_b32_e32 v48, v170
	v_mov_b32_e32 v49, v177
	v_pk_add_f32 v[44:45], v[48:49], v[44:45]
	v_pk_mul_f32 v[48:49], v[188:189], s[42:43] op_sel:[1,0] op_sel_hi:[0,0]
	v_pk_fma_f32 v[182:183], v[148:149], s[28:29], v[48:49] op_sel_hi:[1,0,1]
	v_pk_fma_f32 v[184:185], v[148:149], s[28:29], v[48:49] op_sel_hi:[1,0,1] neg_lo:[0,0,1] neg_hi:[0,0,1]
	;; [unrolled: 6-line block ×5, first 2 shown]
	v_mov_b32_e32 v48, v198
	v_mov_b32_e32 v49, v201
	v_pk_add_f32 v[50:51], v[48:49], v[44:45]
	v_mov_b32_e32 v44, v243
	v_mov_b32_e32 v45, v250
	v_mov_b32_e32 v48, v247
	v_mov_b32_e32 v49, v252
	v_pk_mul_f32 v[60:61], v[120:121], s[6:7] op_sel_hi:[1,0]
	v_pk_mul_f32 v[62:63], v[120:121], s[22:23] op_sel_hi:[1,0]
	v_pk_add_f32 v[58:59], v[44:45], v[48:49] neg_lo:[0,1] neg_hi:[0,1]
	v_pk_add_f32 v[44:45], v[44:45], v[48:49]
	v_pk_fma_f32 v[210:211], v[118:119], s[2:3], v[60:61] op_sel:[0,0,1] op_sel_hi:[1,0,0] neg_lo:[0,0,1] neg_hi:[0,0,1]
	v_pk_fma_f32 v[254:255], v[118:119], s[18:19], v[62:63] op_sel:[0,0,1] op_sel_hi:[1,0,0]
	v_pk_mul_f32 v[66:67], v[122:123], s[42:43] op_sel_hi:[1,0]
	v_pk_mul_f32 v[70:71], v[122:123], s[26:27] op_sel_hi:[1,0]
	v_mov_b32_e32 v59, v45
	v_mov_b32_e32 v44, v254
	;; [unrolled: 1-line block ×3, first 2 shown]
	v_pk_fma_f32 v[214:215], v[116:117], s[28:29], v[66:67] op_sel:[0,0,1] op_sel_hi:[1,0,0] neg_lo:[0,0,1] neg_hi:[0,0,1]
	v_pk_fma_f32 v[90:91], v[116:117], s[24:25], v[70:71] op_sel:[0,0,1] op_sel_hi:[1,0,0]
	v_pk_add_f32 v[44:45], v[44:45], v[4:5]
	v_mov_b32_e32 v48, v90
	v_mov_b32_e32 v49, v215
	v_pk_mul_f32 v[76:77], v[172:173], s[26:27] op_sel_hi:[1,0]
	v_pk_mul_f32 v[80:81], v[172:173], s[52:53] op_sel_hi:[1,0]
	v_pk_add_f32 v[48:49], v[48:49], v[44:45]
	v_pk_fma_f32 v[222:223], v[162:163], s[24:25], v[76:77] op_sel:[0,0,1] op_sel_hi:[1,0,0] neg_lo:[0,0,1] neg_hi:[0,0,1]
	v_pk_fma_f32 v[44:45], v[162:163], s[34:35], v[80:81] op_sel:[0,0,1] op_sel_hi:[1,0,0]
	v_mov_b32_e32 v95, v55
	v_mov_b32_e32 v54, v44
	;; [unrolled: 1-line block ×3, first 2 shown]
	v_pk_mul_f32 v[84:85], v[186:187], s[38:39] op_sel:[1,0] op_sel_hi:[0,0]
	v_pk_mul_f32 v[92:93], v[186:187], s[46:47] op_sel:[1,0] op_sel_hi:[0,0]
	v_pk_add_f32 v[54:55], v[54:55], v[48:49]
	v_pk_fma_f32 v[226:227], v[132:133], s[34:35], v[84:85] op_sel_hi:[1,0,1] neg_lo:[0,0,1] neg_hi:[0,0,1]
	v_pk_fma_f32 v[48:49], v[132:133], s[40:41], v[92:93] op_sel_hi:[1,0,1]
	v_mov_b32_e32 v103, v227
	v_mov_b32_e32 v102, v48
	v_pk_mul_f32 v[228:229], v[188:189], s[16:17] op_sel:[1,0] op_sel_hi:[0,0]
	v_pk_mul_f32 v[238:239], v[188:189], s[50:51] op_sel:[1,0] op_sel_hi:[0,0]
	v_pk_add_f32 v[102:103], v[102:103], v[54:55]
	v_pk_fma_f32 v[232:233], v[148:149], s[10:11], v[228:229] op_sel_hi:[1,0,1] neg_lo:[0,0,1] neg_hi:[0,0,1]
	v_pk_fma_f32 v[54:55], v[148:149], s[2:3], v[238:239] op_sel_hi:[1,0,1]
	v_mov_b32_e32 v209, v233
	v_mov_b32_e32 v208, v54
	v_pk_add_f32 v[102:103], v[208:209], v[102:103]
	s_mov_b32 s47, s20
	v_pk_add_f32 v[102:103], v[58:59], v[102:103] op_sel:[0,1] op_sel_hi:[1,0]
	v_pk_fma_f32 v[208:209], v[132:133], s[40:41], v[92:93] op_sel_hi:[1,0,1] neg_lo:[0,0,1] neg_hi:[0,0,1]
	s_mov_b32 s41, s8
	v_pk_mul_f32 v[58:59], v[204:205], s[46:47] op_sel:[1,0] op_sel_hi:[0,1]
	v_pk_fma_f32 v[92:93], v[174:175], s[40:41], v[58:59]
	v_pk_fma_f32 v[58:59], v[174:175], s[40:41], v[58:59] neg_lo:[0,0,1] neg_hi:[0,0,1]
	v_pk_fma_f32 v[60:61], v[118:119], s[2:3], v[60:61] op_sel:[0,0,1] op_sel_hi:[1,0,0]
	v_pk_fma_f32 v[218:219], v[118:119], s[18:19], v[62:63] op_sel:[0,0,1] op_sel_hi:[1,0,0] neg_lo:[0,0,1] neg_hi:[0,0,1]
	v_mov_b32_e32 v93, v59
	v_pk_fma_f32 v[58:59], v[116:117], s[28:29], v[66:67] op_sel:[0,0,1] op_sel_hi:[1,0,0]
	v_pk_fma_f32 v[216:217], v[116:117], s[24:25], v[70:71] op_sel:[0,0,1] op_sel_hi:[1,0,0] neg_lo:[0,0,1] neg_hi:[0,0,1]
	v_mov_b32_e32 v62, v60
	v_mov_b32_e32 v63, v219
	v_pk_add_f32 v[62:63], v[62:63], v[4:5]
	v_mov_b32_e32 v66, v58
	v_mov_b32_e32 v67, v217
	v_pk_add_f32 v[66:67], v[66:67], v[62:63]
	v_pk_fma_f32 v[62:63], v[162:163], s[24:25], v[76:77] op_sel:[0,0,1] op_sel_hi:[1,0,0]
	v_pk_fma_f32 v[224:225], v[162:163], s[34:35], v[80:81] op_sel:[0,0,1] op_sel_hi:[1,0,0] neg_lo:[0,0,1] neg_hi:[0,0,1]
	v_mov_b32_e32 v70, v62
	v_mov_b32_e32 v71, v225
	v_pk_add_f32 v[70:71], v[70:71], v[66:67]
	v_pk_fma_f32 v[66:67], v[132:133], s[34:35], v[84:85] op_sel_hi:[1,0,1]
	v_mov_b32_e32 v77, v209
	v_mov_b32_e32 v76, v66
	v_pk_add_f32 v[76:77], v[76:77], v[70:71]
	v_pk_fma_f32 v[70:71], v[148:149], s[10:11], v[228:229] op_sel_hi:[1,0,1]
	v_pk_fma_f32 v[228:229], v[148:149], s[2:3], v[238:239] op_sel_hi:[1,0,1] neg_lo:[0,0,1] neg_hi:[0,0,1]
	v_pk_mul_f32 v[86:87], v[188:189], s[52:53] op_sel:[1,0] op_sel_hi:[0,0]
	s_mov_b32 s52, 0x3f4c4adb
	v_mov_b32_e32 v80, v70
	v_mov_b32_e32 v81, v229
	;; [unrolled: 1-line block ×3, first 2 shown]
	v_pk_mul_f32 v[108:109], v[186:187], s[52:53] op_sel:[1,0] op_sel_hi:[0,0]
	v_pk_add_f32 v[76:77], v[80:81], v[76:77]
	v_pk_add_f32 v[74:75], v[74:75], v[100:101]
	v_pk_fma_f32 v[112:113], v[132:133], s[18:19], v[108:109] op_sel_hi:[1,0,1] neg_lo:[0,0,1] neg_hi:[0,0,1]
	v_pk_fma_f32 v[100:101], v[132:133], s[18:19], v[108:109] op_sel_hi:[1,0,1]
	v_pk_add_f32 v[84:85], v[92:93], v[76:77]
	v_pk_fma_f32 v[76:77], v[148:149], s[34:35], v[86:87] op_sel_hi:[1,0,1] neg_lo:[0,0,1] neg_hi:[0,0,1]
	v_pk_fma_f32 v[80:81], v[148:149], s[34:35], v[86:87] op_sel_hi:[1,0,1]
	v_pk_mul_f32 v[96:97], v[204:205], s[42:43] op_sel:[1,0] op_sel_hi:[0,0]
	v_mov_b32_e32 v100, v112
	v_mov_b32_e32 v77, v81
	v_pk_fma_f32 v[80:81], v[174:175], s[28:29], v[96:97] op_sel_hi:[1,0,1] neg_lo:[0,0,1] neg_hi:[0,0,1]
	v_pk_fma_f32 v[92:93], v[174:175], s[28:29], v[96:97] op_sel_hi:[1,0,1]
	v_pk_add_f32 v[74:75], v[100:101], v[74:75]
	v_mov_b32_e32 v81, v93
	v_pk_mul_f32 v[104:105], v[220:221], s[36:37] op_sel:[1,0] op_sel_hi:[0,0]
	v_pk_add_f32 v[74:75], v[76:77], v[74:75]
	v_pk_mul_f32 v[76:77], v[220:221], s[52:53] op_sel:[1,0] op_sel_hi:[0,0]
	v_pk_mul_f32 v[100:101], v[220:221], s[42:43] op_sel:[1,0] op_sel_hi:[0,0]
	v_pk_fma_f32 v[92:93], v[212:213], s[8:9], v[104:105] op_sel_hi:[1,0,1] neg_lo:[0,0,1] neg_hi:[0,0,1]
	v_pk_fma_f32 v[238:239], v[212:213], s[8:9], v[104:105] op_sel_hi:[1,0,1]
	v_pk_add_f32 v[74:75], v[80:81], v[74:75]
	v_pk_fma_f32 v[244:245], v[212:213], s[18:19], v[76:77] op_sel_hi:[1,0,1] neg_lo:[0,0,1] neg_hi:[0,0,1]
	v_pk_fma_f32 v[80:81], v[212:213], s[28:29], v[100:101] op_sel_hi:[1,0,1]
	v_mov_b32_e32 v93, v239
	v_mov_b32_e32 v238, v245
	;; [unrolled: 1-line block ×3, first 2 shown]
	v_pk_add_f32 v[102:103], v[238:239], v[102:103]
	v_pk_fma_f32 v[76:77], v[212:213], s[18:19], v[76:77] op_sel_hi:[1,0,1]
	v_pk_fma_f32 v[238:239], v[212:213], s[28:29], v[100:101] op_sel_hi:[1,0,1] neg_lo:[0,0,1] neg_hi:[0,0,1]
	v_mov_b32_e32 v100, v76
	v_mov_b32_e32 v101, v239
	v_pk_add_f32 v[74:75], v[92:93], v[74:75]
	v_pk_mul_f32 v[92:93], v[206:207], s[36:37] op_sel:[1,0] op_sel_hi:[0,0]
	v_pk_mul_f32 v[240:241], v[206:207], s[44:45] op_sel:[1,0] op_sel_hi:[0,0]
	v_pk_add_f32 v[100:101], v[100:101], v[84:85]
	v_pk_fma_f32 v[248:249], v[202:203], s[8:9], v[92:93] op_sel_hi:[1,0,1] neg_lo:[0,0,1] neg_hi:[0,0,1]
	v_pk_fma_f32 v[84:85], v[202:203], s[10:11], v[240:241] op_sel_hi:[1,0,1]
	v_mov_b32_e32 v126, v249
	v_mov_b32_e32 v127, v84
	v_pk_fma_f32 v[92:93], v[202:203], s[8:9], v[92:93] op_sel_hi:[1,0,1]
	v_pk_fma_f32 v[240:241], v[202:203], s[10:11], v[240:241] op_sel_hi:[1,0,1] neg_lo:[0,0,1] neg_hi:[0,0,1]
	v_pk_add_f32 v[102:103], v[126:127], v[102:103]
	v_mov_b32_e32 v126, v92
	v_mov_b32_e32 v127, v241
	v_pk_add_f32 v[100:101], v[126:127], v[100:101]
	v_pk_mul_f32 v[126:127], v[206:207], s[48:49] op_sel:[1,0] op_sel_hi:[0,0]
	v_pk_fma_f32 v[136:137], v[202:203], s[24:25], v[126:127] op_sel_hi:[1,0,1] neg_lo:[0,0,1] neg_hi:[0,0,1]
	v_pk_fma_f32 v[130:131], v[202:203], s[24:25], v[126:127] op_sel_hi:[1,0,1]
	v_pk_mul_f32 v[142:143], v[120:121], s[42:43] op_sel_hi:[1,0]
	v_mov_b32_e32 v137, v131
	v_pk_add_f32 v[74:75], v[136:137], v[74:75]
	v_pk_fma_f32 v[130:131], v[118:119], s[28:29], v[142:143] op_sel:[0,0,1] op_sel_hi:[1,0,0]
	v_pk_fma_f32 v[136:137], v[118:119], s[28:29], v[142:143] op_sel:[0,0,1] op_sel_hi:[1,0,0] neg_lo:[0,0,1] neg_hi:[0,0,1]
	v_pk_mul_f32 v[118:119], v[118:119], s[28:29] op_sel_hi:[1,0]
	v_pk_mul_f32 v[122:123], v[122:123], s[38:39] op_sel_hi:[1,0]
	;; [unrolled: 1-line block ×3, first 2 shown]
	v_mov_b32_e32 v131, v137
	v_mov_b32_e32 v136, v140
	;; [unrolled: 1-line block ×5, first 2 shown]
	v_pk_add_f32 v[120:121], v[136:137], v[120:121] neg_lo:[0,1] neg_hi:[0,1]
	v_mov_b32_e32 v118, v141
	v_mov_b32_e32 v137, v142
	;; [unrolled: 1-line block ×3, first 2 shown]
	v_pk_add_f32 v[118:119], v[136:137], v[118:119]
	v_pk_fma_f32 v[136:137], v[116:117], s[34:35], v[122:123] op_sel:[0,0,1] op_sel_hi:[1,0,0]
	v_pk_fma_f32 v[116:117], v[116:117], s[34:35], v[122:123] op_sel:[0,0,1] op_sel_hi:[1,0,0] neg_lo:[0,0,1] neg_hi:[0,0,1]
	v_pk_mul_f32 v[140:141], v[188:189], s[22:23] op_sel:[1,0] op_sel_hi:[0,0]
	v_mov_b32_e32 v137, v117
	v_pk_mul_f32 v[116:117], v[172:173], s[46:47] op_sel_hi:[1,0]
	v_pk_fma_f32 v[142:143], v[148:149], s[18:19], v[140:141] op_sel_hi:[1,0,1]
	v_pk_fma_f32 v[122:123], v[162:163], s[40:41], v[116:117] op_sel:[0,0,1] op_sel_hi:[1,0,0] neg_lo:[0,0,1] neg_hi:[0,0,1]
	v_pk_fma_f32 v[116:117], v[162:163], s[40:41], v[116:117] op_sel:[0,0,1] op_sel_hi:[1,0,0]
	v_pk_fma_f32 v[162:163], v[148:149], s[18:19], v[140:141] op_sel_hi:[1,0,1] neg_lo:[0,0,1] neg_hi:[0,0,1]
	v_pk_mul_f32 v[152:153], v[220:221], s[48:49] op_sel:[1,0] op_sel_hi:[0,0]
	v_mov_b32_e32 v143, v163
	v_pk_mul_f32 v[162:163], v[204:205], s[44:45] op_sel:[1,0] op_sel_hi:[0,0]
	v_pk_fma_f32 v[146:147], v[174:175], s[10:11], v[162:163] op_sel_hi:[1,0,1]
	v_pk_fma_f32 v[172:173], v[174:175], s[10:11], v[162:163] op_sel_hi:[1,0,1] neg_lo:[0,0,1] neg_hi:[0,0,1]
	v_mov_b32_e32 v44, v121
	v_mov_b32_e32 v147, v173
	v_pk_mul_f32 v[172:173], v[212:213], s[24:25] op_sel_hi:[1,0]
	v_pk_add_f32 v[130:131], v[130:131], v[4:5]
	v_mov_b32_e32 v172, v173
	v_mov_b32_e32 v173, v104
	v_pk_mul_f32 v[104:105], v[212:213], s[8:9] op_sel_hi:[1,0]
	v_pk_add_f32 v[130:131], v[136:137], v[130:131]
	v_mov_b32_e32 v105, v104
	v_mov_b32_e32 v104, v153
	v_pk_add_f32 v[104:105], v[104:105], v[172:173]
	v_pk_mul_f32 v[172:173], v[202:203], s[24:25] op_sel_hi:[1,0]
	s_mov_b32 s25, s8
	v_pk_fma_f32 v[234:235], v[212:213], s[24:25], v[152:153] op_sel_hi:[1,0,1]
	v_pk_fma_f32 v[152:153], v[212:213], s[24:25], v[152:153] op_sel_hi:[1,0,1] neg_lo:[0,0,1] neg_hi:[0,0,1]
	v_mov_b32_e32 v136, v116
	v_mov_b32_e32 v235, v153
	v_pk_add_f32 v[152:153], v[44:45], v[4:5]
	v_mov_b32_e32 v137, v123
	v_pk_add_f32 v[120:121], v[120:121], v[152:153]
	v_pk_add_f32 v[152:153], v[118:119], v[4:5]
	;; [unrolled: 1-line block ×3, first 2 shown]
	v_pk_mul_f32 v[136:137], v[186:187], s[36:37] op_sel:[1,0] op_sel_hi:[0,0]
	v_mov_b32_e32 v44, v153
	v_pk_fma_f32 v[152:153], v[132:133], s[8:9], v[136:137] op_sel_hi:[1,0,1] neg_lo:[0,0,1] neg_hi:[0,0,1]
	v_pk_fma_f32 v[186:187], v[132:133], s[8:9], v[136:137] op_sel_hi:[1,0,1]
	v_pk_add_f32 v[120:121], v[122:123], v[120:121]
	v_mov_b32_e32 v187, v153
	v_mov_b32_e32 v121, v113
	;; [unrolled: 1-line block ×3, first 2 shown]
	v_pk_add_f32 v[112:113], v[120:121], v[152:153]
	v_pk_mul_f32 v[120:121], v[132:133], s[18:19] op_sel_hi:[1,0]
	v_pk_mul_f32 v[132:133], v[132:133], s[8:9] op_sel_hi:[1,0]
	v_pk_add_f32 v[130:131], v[186:187], v[130:131]
	s_mov_b32 s53, s38
	v_mov_b32_e32 v136, v137
	v_mov_b32_e32 v137, v230
	;; [unrolled: 1-line block ×3, first 2 shown]
	v_accvgpr_read_b32 v133, a2
	v_pk_add_f32 v[118:119], v[118:119], v[44:45]
	v_pk_add_f32 v[130:131], v[142:143], v[130:131]
	v_pk_mul_f32 v[122:123], v[148:149], s[18:19] op_sel_hi:[1,0]
	s_mov_b32 s19, s34
	v_pk_mul_f32 v[142:143], v[188:189], s[52:53] op_sel:[1,0] op_sel_hi:[0,1]
	v_pk_add_f32 v[132:133], v[136:137], v[132:133]
	v_pk_mul_f32 v[136:137], v[148:149], s[34:35] op_sel_hi:[1,0]
	v_pk_fma_f32 v[142:143], v[148:149], s[18:19], v[142:143]
	v_mov_b32_e32 v140, v141
	v_mov_b32_e32 v141, v136
	;; [unrolled: 1-line block ×7, first 2 shown]
	v_pk_add_f32 v[112:113], v[142:143], v[112:113]
	v_pk_mul_f32 v[142:143], v[174:175], s[10:11] op_sel_hi:[1,0]
	v_pk_add_f32 v[86:87], v[140:141], v[122:123]
	v_pk_mul_f32 v[122:123], v[174:175], s[28:29] op_sel_hi:[1,0]
	v_pk_add_f32 v[108:109], v[116:117], v[118:119]
	s_mov_b32 s17, s30
	v_mov_b32_e32 v136, v163
	v_mov_b32_e32 v137, v122
	;; [unrolled: 1-line block ×4, first 2 shown]
	v_pk_add_f32 v[108:109], v[108:109], v[132:133]
	s_mov_b32 s27, s20
	s_mov_b32 s11, s28
	v_pk_mul_f32 v[152:153], v[204:205], s[16:17] op_sel:[1,0] op_sel_hi:[0,1]
	v_pk_add_f32 v[96:97], v[136:137], v[122:123]
	v_pk_add_f32 v[86:87], v[86:87], v[108:109]
	v_pk_mul_f32 v[220:221], v[220:221], s[26:27] op_sel:[1,0] op_sel_hi:[0,1]
	v_pk_fma_f32 v[152:153], v[174:175], s[10:11], v[152:153]
	v_pk_add_f32 v[86:87], v[96:97], v[86:87]
	v_pk_fma_f32 v[220:221], v[212:213], s[24:25], v[220:221]
	v_pk_add_f32 v[112:113], v[152:153], v[112:113]
	v_pk_add_f32 v[86:87], v[104:105], v[86:87]
	v_pk_mul_f32 v[104:105], v[202:203], s[2:3] op_sel_hi:[1,0]
	v_pk_mul_f32 v[120:121], v[206:207], s[50:51] op_sel:[1,0] op_sel_hi:[0,0]
	v_pk_add_f32 v[108:109], v[220:221], v[112:113]
	v_mov_b32_e32 v104, v105
	v_mov_b32_e32 v105, v172
	;; [unrolled: 1-line block ×4, first 2 shown]
	v_pk_add_f32 v[104:105], v[104:105], v[112:113]
	s_mov_b32 s3, s24
	s_mov_b32 s7, s26
	v_pk_add_f32 v[96:97], v[146:147], v[130:131]
	v_pk_mul_f32 v[112:113], v[206:207], s[6:7] op_sel:[1,0] op_sel_hi:[0,1]
	v_pk_add_f32 v[118:119], v[104:105], v[86:87]
	v_pk_fma_f32 v[86:87], v[202:203], s[2:3], v[120:121] op_sel_hi:[1,0,1]
	v_pk_fma_f32 v[104:105], v[202:203], s[2:3], v[120:121] op_sel_hi:[1,0,1] neg_lo:[0,0,1] neg_hi:[0,0,1]
	v_accvgpr_read_b32 v90, a1
	v_pk_add_f32 v[96:97], v[234:235], v[96:97]
	v_pk_fma_f32 v[112:113], v[202:203], s[2:3], v[112:113]
	v_mov_b32_e32 v87, v105
	v_mul_lo_u16_e32 v39, 17, v90
	v_mov_b64_e32 v[172:173], v[156:157]
	v_pk_add_f32 v[116:117], v[112:113], v[108:109]
	v_pk_add_f32 v[120:121], v[86:87], v[96:97]
	v_accvgpr_write_b32 a5, v39
	s_barrier
	s_and_saveexec_b64 s[2:3], s[4:5]
	s_cbranch_execz .LBB0_7
; %bb.6:
	v_pk_add_f32 v[6:7], v[6:7], v[4:5]
	v_mov_b32_e32 v125, v79
	v_pk_add_f32 v[6:7], v[28:29], v[6:7]
	v_mov_b32_e32 v129, v69
	;; [unrolled: 2-line block ×7, first 2 shown]
	v_pk_add_f32 v[6:7], v[8:9], v[6:7]
	v_pk_add_f32 v[8:9], v[124:125], v[4:5]
	;; [unrolled: 1-line block ×13, first 2 shown]
	v_accvgpr_read_b32 v20, a5
	v_pk_add_f32 v[6:7], v[34:35], v[6:7]
	v_pk_add_f32 v[8:9], v[168:169], v[8:9]
	v_mov_b32_e32 v181, v179
	v_accvgpr_read_b32 v47, a9
	v_mov_b32_e32 v39, v89
	v_lshlrev_b32_e32 v20, 3, v20
	v_pk_add_f32 v[6:7], v[36:37], v[6:7]
	v_pk_add_f32 v[8:9], v[180:181], v[8:9]
	v_mov_b32_e32 v43, v41
	v_accvgpr_read_b32 v41, a3
	ds_write2_b64 v20, v[6:7], v[8:9] offset1:1
	v_pk_add_f32 v[6:7], v[38:39], v[4:5]
	v_pk_add_f32 v[8:9], v[46:47], v[4:5]
	v_mov_b32_e32 v53, v57
	v_pk_add_f32 v[6:7], v[40:41], v[6:7]
	v_accvgpr_read_b32 v57, a7
	v_pk_add_f32 v[8:9], v[42:43], v[8:9]
	v_pk_add_f32 v[6:7], v[56:57], v[6:7]
	v_accvgpr_read_b32 v69, a13
	v_mov_b32_e32 v79, v65
	v_pk_add_f32 v[8:9], v[52:53], v[8:9]
	v_accvgpr_read_b32 v65, a11
	v_pk_add_f32 v[6:7], v[68:69], v[6:7]
	v_mov_b32_e32 v95, v73
	v_pk_add_f32 v[8:9], v[64:65], v[8:9]
	v_accvgpr_read_b32 v73, a15
	v_pk_add_f32 v[6:7], v[78:79], v[6:7]
	;; [unrolled: 4-line block ×4, first 2 shown]
	v_pk_add_f32 v[8:9], v[98:99], v[8:9]
	v_accvgpr_read_b32 v111, a21
	v_mov_b32_e32 v219, v255
	v_mov_b32_e32 v211, v61
	v_pk_add_f32 v[6:7], v[114:115], v[6:7]
	v_pk_add_f32 v[8:9], v[110:111], v[8:9]
	v_accvgpr_read_b32 v135, a23
	v_mov_b32_e32 v217, v91
	ds_write2_b64 v20, v[6:7], v[8:9] offset0:2 offset1:3
	v_pk_add_f32 v[6:7], v[210:211], v[4:5]
	v_pk_add_f32 v[8:9], v[134:135], v[4:5]
	;; [unrolled: 1-line block ×3, first 2 shown]
	v_mov_b32_e32 v225, v45
	v_mov_b32_e32 v215, v59
	v_accvgpr_read_b32 v139, a25
	v_pk_add_f32 v[4:5], v[216:217], v[4:5]
	v_mov_b32_e32 v209, v49
	v_mov_b32_e32 v223, v63
	v_pk_add_f32 v[6:7], v[214:215], v[6:7]
	v_pk_add_f32 v[8:9], v[138:139], v[8:9]
	v_mov_b32_e32 v165, v161
	v_pk_add_f32 v[4:5], v[224:225], v[4:5]
	v_mov_b32_e32 v229, v55
	v_pk_add_f32 v[44:45], v[250:251], v[252:253] neg_lo:[0,1] neg_hi:[0,1]
	v_pk_add_f32 v[48:49], v[250:251], v[252:253]
	v_mov_b32_e32 v227, v67
	v_pk_add_f32 v[6:7], v[222:223], v[6:7]
	v_pk_add_f32 v[8:9], v[164:165], v[8:9]
	v_mov_b32_e32 v177, v171
	v_pk_add_f32 v[4:5], v[208:209], v[4:5]
	v_mov_b32_e32 v45, v49
	v_mov_b32_e32 v233, v71
	v_pk_add_f32 v[48:49], v[242:243], v[246:247] neg_lo:[0,1] neg_hi:[0,1]
	v_pk_add_f32 v[54:55], v[242:243], v[246:247]
	v_pk_add_f32 v[6:7], v[226:227], v[6:7]
	;; [unrolled: 1-line block ×3, first 2 shown]
	v_mov_b32_e32 v185, v183
	v_pk_add_f32 v[4:5], v[228:229], v[4:5]
	v_mov_b32_e32 v239, v81
	v_mov_b32_e32 v49, v55
	v_pk_add_f32 v[6:7], v[232:233], v[6:7]
	v_pk_add_f32 v[8:9], v[184:185], v[8:9]
	v_mov_b32_e32 v193, v191
	v_pk_add_f32 v[4:5], v[44:45], v[4:5]
	v_mov_b32_e32 v241, v85
	v_mov_b32_e32 v245, v77
	v_pk_add_f32 v[6:7], v[48:49], v[6:7]
	v_pk_add_f32 v[8:9], v[192:193], v[8:9]
	v_mov_b32_e32 v197, v195
	v_pk_add_f32 v[4:5], v[238:239], v[4:5]
	v_mov_b32_e32 v249, v93
	v_pk_add_f32 v[6:7], v[244:245], v[6:7]
	v_pk_add_f32 v[8:9], v[196:197], v[8:9]
	v_mov_b32_e32 v201, v199
	v_pk_add_f32 v[4:5], v[240:241], v[4:5]
	v_pk_add_f32 v[6:7], v[248:249], v[6:7]
	;; [unrolled: 1-line block ×3, first 2 shown]
	ds_write2_b64 v20, v[4:5], v[74:75] offset0:6 offset1:7
	v_mov_b32_e32 v4, v116
	v_mov_b32_e32 v5, v118
	ds_write2_b64 v20, v[6:7], v[8:9] offset0:4 offset1:5
	ds_write2_b64 v20, v[4:5], v[120:121] offset0:8 offset1:9
	v_mov_b32_e32 v4, v119
	v_mov_b32_e32 v5, v117
	;; [unrolled: 1-line block ×4, first 2 shown]
	ds_write2_b64 v20, v[4:5], v[6:7] offset0:10 offset1:11
	v_mov_b32_e32 v4, v100
	v_mov_b32_e32 v5, v102
	ds_write2_b64 v20, v[50:51], v[4:5] offset0:12 offset1:13
	ds_write2_b64 v20, v[0:1], v[2:3] offset0:14 offset1:15
	ds_write_b64 v20, v[172:173] offset:128
.LBB0_7:
	s_or_b64 exec, exec, s[2:3]
	v_add_u32_e32 v4, 0xa00, v88
	s_load_dwordx2 s[8:9], s[0:1], 0x20
	s_load_dwordx2 s[6:7], s[0:1], 0x8
	s_waitcnt lgkmcnt(0)
	s_barrier
	ds_read2_b64 v[32:35], v4 offset0:54 offset1:241
	v_add_u32_e32 v4, 0x1600, v88
	ds_read2_b64 v[28:31], v88 offset1:187
	ds_read2_b64 v[36:39], v4 offset0:44 offset1:231
	ds_read_b64 v[40:41], v88 offset:8976
	s_movk_i32 s0, 0x44
	v_cmp_gt_u16_e64 s[2:3], s0, v90
	s_movk_i32 s0, 0x43
	v_cmp_lt_u16_e32 vcc, s0, v90
	s_and_saveexec_b64 s[0:1], vcc
	s_xor_b64 s[0:1], exec, s[0:1]
	s_andn2_saveexec_b64 s[0:1], s[0:1]
	s_cbranch_execz .LBB0_9
; %bb.8:
	v_add_u32_e32 v4, 0x200, v88
	v_add_u32_e32 v8, 0xe00, v88
	;; [unrolled: 1-line block ×3, first 2 shown]
	ds_read2_b64 v[4:7], v4 offset0:55 offset1:242
	ds_read2_b64 v[8:11], v8 offset0:45 offset1:232
	;; [unrolled: 1-line block ×3, first 2 shown]
	ds_read_b64 v[16:17], v88 offset:9928
	s_waitcnt lgkmcnt(3)
	v_mov_b32_e32 v116, v6
	s_waitcnt lgkmcnt(2)
	v_mov_b32_e32 v117, v11
	v_mov_b32_e32 v118, v7
	;; [unrolled: 1-line block ×3, first 2 shown]
	s_waitcnt lgkmcnt(0)
	v_mov_b32_e32 v100, v16
	v_mov_b32_e32 v101, v13
	v_mov_b32_e32 v102, v17
	v_mov_b32_e32 v103, v12
	v_mov_b64_e32 v[74:75], v[4:5]
	v_mov_b64_e32 v[50:51], v[14:15]
	;; [unrolled: 1-line block ×3, first 2 shown]
.LBB0_9:
	s_or_b64 exec, exec, s[0:1]
	s_movk_i32 s0, 0xf1
	v_mul_lo_u16_sdwa v4, v90, s0 dst_sel:DWORD dst_unused:UNUSED_PAD src0_sel:BYTE_0 src1_sel:DWORD
	v_lshrrev_b16_e32 v68, 12, v4
	v_mul_lo_u16_e32 v4, 17, v68
	v_sub_u16_e32 v4, v90, v4
	v_and_b32_e32 v89, 0xff, v4
	v_mul_u32_u24_e32 v4, 6, v89
	v_lshlrev_b32_e32 v42, 3, v4
	v_add_u16_e32 v4, 0x77, v90
	v_mul_lo_u16_sdwa v5, v4, s0 dst_sel:DWORD dst_unused:UNUSED_PAD src0_sel:BYTE_0 src1_sel:DWORD
	v_lshrrev_b16_e32 v5, 12, v5
	v_accvgpr_write_b32 a2, v5
	v_mul_lo_u16_e32 v5, 17, v5
	v_sub_u16_e32 v4, v4, v5
	v_and_b32_e32 v4, 0xff, v4
	v_accvgpr_write_b32 a3, v4
	v_mul_u32_u24_e32 v4, 6, v4
	global_load_dwordx4 v[20:23], v42, s[6:7] offset:16
	global_load_dwordx4 v[16:19], v42, s[6:7]
	v_lshlrev_b32_e32 v43, 3, v4
	global_load_dwordx4 v[24:27], v42, s[6:7] offset:32
	global_load_dwordx4 v[4:7], v43, s[6:7]
	global_load_dwordx4 v[8:11], v43, s[6:7] offset:32
	global_load_dwordx4 v[12:15], v43, s[6:7] offset:16
	v_mov_b32_e32 v46, v117
	v_mov_b32_e32 v47, v120
	;; [unrolled: 1-line block ×10, first 2 shown]
	s_mov_b32 s22, 0x3d64c772
	s_mov_b32 s26, 0x3eae86e6
	;; [unrolled: 1-line block ×12, first 2 shown]
	s_load_dwordx4 s[8:11], s[8:9], 0x0
	s_waitcnt lgkmcnt(0)
	s_barrier
	s_waitcnt vmcnt(5)
	v_mul_f32_e32 v67, v37, v22
	s_waitcnt vmcnt(2)
	v_pk_mul_f32 v[58:59], v[120:121], v[6:7]
	s_waitcnt vmcnt(1)
	v_pk_mul_f32 v[60:61], v[50:51], v[8:9]
	v_mov_b32_e32 v72, v5
	s_waitcnt vmcnt(0)
	v_mov_b32_e32 v73, v13
	v_mov_b32_e32 v78, v13
	;; [unrolled: 1-line block ×7, first 2 shown]
	v_mul_f32_e32 v43, v33, v19
	v_mul_f32_e32 v49, v39, v25
	v_mov_b32_e32 v56, v5
	v_mov_b32_e32 v58, v11
	;; [unrolled: 1-line block ×12, first 2 shown]
	v_pk_mul_f32 v[72:73], v[118:119], v[72:73]
	v_pk_mul_f32 v[46:47], v[46:47], v[78:79]
	;; [unrolled: 1-line block ×4, first 2 shown]
	v_fma_f32 v62, v32, v18, -v43
	v_fma_f32 v64, v38, v24, -v49
	v_pk_mul_f32 v[56:57], v[116:117], v[56:57]
	v_pk_mul_f32 v[58:59], v[100:101], v[58:59]
	v_pk_fma_f32 v[60:61], v[120:121], v[6:7], v[60:61] neg_lo:[0,0,1] neg_hi:[0,0,1]
	v_pk_fma_f32 v[50:51], v[50:51], v[8:9], v[66:67] neg_lo:[0,0,1] neg_hi:[0,0,1]
	;; [unrolled: 1-line block ×3, first 2 shown]
	v_pk_fma_f32 v[70:71], v[116:117], v[70:71], v[72:73]
	v_pk_fma_f32 v[42:43], v[42:43], v[12:13], v[46:47] neg_lo:[0,0,1] neg_hi:[0,0,1]
	v_pk_fma_f32 v[44:45], v[44:45], v[76:77], v[46:47]
	v_pk_fma_f32 v[46:47], v[48:49], v[14:15], v[54:55] neg_lo:[0,0,1] neg_hi:[0,0,1]
	;; [unrolled: 2-line block ×3, first 2 shown]
	v_pk_fma_f32 v[54:55], v[100:101], v[84:85], v[78:79]
	v_pk_fma_f32 v[56:57], v[118:119], v[4:5], v[56:57]
	;; [unrolled: 1-line block ×3, first 2 shown]
	v_mov_b32_e32 v83, v71
	v_mov_b32_e32 v43, v45
	;; [unrolled: 1-line block ×8, first 2 shown]
	v_pk_add_f32 v[72:73], v[56:57], v[58:59]
	v_pk_add_f32 v[76:77], v[60:61], v[50:51]
	v_mov_b32_e32 v59, v52
	v_pk_add_f32 v[44:45], v[44:45], v[48:49] neg_lo:[0,1] neg_hi:[0,1]
	v_pk_add_f32 v[48:49], v[42:43], v[46:47]
	v_pk_add_f32 v[50:51], v[82:83], v[52:53]
	v_mov_b32_e32 v52, v55
	v_mov_b32_e32 v53, v46
	;; [unrolled: 1-line block ×5, first 2 shown]
	v_pk_add_f32 v[42:43], v[52:53], v[46:47] neg_lo:[0,1] neg_hi:[0,1]
	v_pk_add_f32 v[46:47], v[76:77], v[50:51]
	v_pk_add_f32 v[56:57], v[56:57], v[58:59] neg_lo:[0,1] neg_hi:[0,1]
	v_mov_b32_e32 v47, v72
	v_pk_add_f32 v[52:53], v[48:49], v[46:47]
	v_mov_b32_e32 v70, v42
	v_mov_b32_e32 v71, v57
	;; [unrolled: 1-line block ×7, first 2 shown]
	v_pk_add_f32 v[60:61], v[42:43], v[44:45]
	v_pk_add_f32 v[70:71], v[70:71], v[78:79] neg_lo:[0,1] neg_hi:[0,1]
	v_mov_b32_e32 v78, v56
	v_mov_b32_e32 v43, v45
	;; [unrolled: 1-line block ×4, first 2 shown]
	v_pk_add_f32 v[54:55], v[54:55], v[76:77] neg_lo:[0,1] neg_hi:[0,1]
	v_pk_add_f32 v[58:59], v[50:51], v[48:49] neg_lo:[0,1] neg_hi:[0,1]
	;; [unrolled: 1-line block ×3, first 2 shown]
	v_pk_add_f32 v[46:47], v[46:47], v[52:53]
	v_pk_add_f32 v[52:53], v[60:61], v[56:57]
	v_pk_add_f32 v[42:43], v[74:75], v[46:47]
	v_pk_mul_f32 v[54:55], v[54:55], s[22:23]
	v_pk_mul_f32 v[60:61], v[58:59], s[24:25]
	;; [unrolled: 1-line block ×4, first 2 shown]
	v_mov_b32_e32 v77, v49
	v_mov_b32_e32 v51, v72
	v_pk_fma_f32 v[58:59], v[58:59], s[24:25], v[54:55]
	v_pk_add_f32 v[48:49], v[76:77], v[50:51] neg_lo:[0,1] neg_hi:[0,1]
	v_pk_add_f32 v[44:45], v[44:45], v[56:57] neg_lo:[0,1] neg_hi:[0,1]
	v_mov_b32_e32 v50, v54
	v_mov_b32_e32 v51, v61
	;; [unrolled: 1-line block ×6, first 2 shown]
	v_pk_mul_f32 v[72:73], v[30:31], v[16:17] op_sel_hi:[1,0]
	v_mul_f32_e32 v69, v36, v23
	v_pk_fma_f32 v[54:55], v[44:45], s[18:19], v[54:55] op_sel_hi:[1,0,1] neg_lo:[0,0,1] neg_hi:[0,0,1]
	v_pk_fma_f32 v[44:45], v[44:45], s[18:19], v[74:75] op_sel_hi:[1,0,1] neg_lo:[1,0,1] neg_hi:[1,0,1]
	v_pk_fma_f32 v[74:75], v[30:31], v[16:17], v[72:73] op_sel:[0,1,1] op_sel_hi:[1,1,0]
	v_pk_fma_f32 v[30:31], v[30:31], v[16:17], v[72:73] op_sel:[0,1,1] op_sel_hi:[1,1,0] neg_lo:[1,0,0] neg_hi:[1,0,0]
	v_mov_b32_e32 v72, v33
	v_mov_b32_e32 v73, v36
	v_mov_b32_e32 v33, v37
	v_mov_b32_e32 v36, v19
	v_mov_b32_e32 v37, v23
	v_mov_b32_e32 v76, v18
	v_mov_b32_e32 v77, v22
	v_pk_mul_f32 v[32:33], v[32:33], v[36:37]
	v_mul_f32_e32 v63, v35, v20
	v_mul_f32_e32 v65, v34, v21
	v_pk_fma_f32 v[36:37], v[72:73], v[18:19], v[32:33]
	v_pk_fma_f32 v[32:33], v[72:73], v[76:77], v[32:33] neg_lo:[0,0,1] neg_hi:[0,0,1]
	v_mov_b32_e32 v72, v39
	v_mov_b32_e32 v73, v34
	;; [unrolled: 1-line block ×5, first 2 shown]
	v_pk_fma_f32 v[46:47], v[46:47], s[16:17], v[42:43] op_sel_hi:[1,0,1] neg_lo:[1,0,0] neg_hi:[1,0,0]
	v_pk_fma_f32 v[50:51], v[48:49], s[20:21], v[50:51] op_sel_hi:[1,0,1] neg_lo:[0,0,1] neg_hi:[0,0,1]
	;; [unrolled: 1-line block ×3, first 2 shown]
	v_mov_b32_e32 v76, v24
	v_mov_b32_e32 v77, v20
	v_pk_mul_f32 v[34:35], v[38:39], v[34:35]
	v_pk_fma_f32 v[78:79], v[78:79], s[26:27], v[70:71]
	v_pk_add_f32 v[58:59], v[58:59], v[46:47]
	v_pk_add_f32 v[48:49], v[48:49], v[46:47]
	;; [unrolled: 1-line block ×3, first 2 shown]
	v_pk_fma_f32 v[50:51], v[52:53], s[0:1], v[54:55] op_sel_hi:[1,0,1]
	v_pk_fma_f32 v[38:39], v[72:73], v[24:25], v[34:35]
	v_pk_fma_f32 v[34:35], v[72:73], v[76:77], v[34:35] neg_lo:[0,0,1] neg_hi:[0,0,1]
	v_pk_mul_f32 v[72:73], v[40:41], v[26:27] op_sel_hi:[1,0]
	v_mov_b32_e32 v30, v27
	v_pk_fma_f32 v[78:79], v[52:53], s[0:1], v[78:79] op_sel_hi:[1,0,1]
	v_pk_fma_f32 v[52:53], v[52:53], s[0:1], v[44:45] op_sel_hi:[1,0,1]
	v_pk_add_f32 v[44:45], v[46:47], v[50:51]
	v_pk_fma_f32 v[76:77], v[40:41], v[30:31], v[72:73] op_sel:[0,0,1] op_sel_hi:[1,0,0]
	v_pk_fma_f32 v[40:41], v[40:41], v[30:31], v[72:73] op_sel:[0,0,1] op_sel_hi:[1,0,0] neg_lo:[1,0,0] neg_hi:[1,0,0]
	v_mov_b32_e32 v54, v44
	v_mul_u32_u24_e32 v44, 0x77, v68
	v_mov_b32_e32 v75, v31
	v_mov_b32_e32 v37, v33
	;; [unrolled: 1-line block ×6, first 2 shown]
	v_pk_add_f32 v[70:71], v[62:63], v[64:65]
	v_pk_add_f32 v[72:73], v[74:75], v[76:77]
	v_pk_add_f32 v[74:75], v[74:75], v[76:77] neg_lo:[0,1] neg_hi:[0,1]
	v_pk_add_f32 v[76:77], v[36:37], v[38:39]
	v_pk_add_f32 v[30:31], v[66:67], v[68:69]
	v_pk_add_f32 v[36:37], v[36:37], v[38:39] neg_lo:[0,1] neg_hi:[0,1]
	v_mov_b32_e32 v38, v31
	v_mov_b32_e32 v39, v62
	;; [unrolled: 1-line block ×8, first 2 shown]
	v_pk_add_f32 v[38:39], v[38:39], v[40:41] neg_lo:[0,1] neg_hi:[0,1]
	v_pk_add_f32 v[68:69], v[70:71], v[30:31]
	v_pk_add_f32 v[32:33], v[34:35], v[32:33]
	v_mov_b32_e32 v64, v38
	v_mov_b32_e32 v65, v75
	;; [unrolled: 1-line block ×5, first 2 shown]
	v_pk_add_f32 v[46:47], v[46:47], v[50:51] neg_lo:[0,1] neg_hi:[0,1]
	v_pk_add_f32 v[50:51], v[48:49], v[52:53] neg_lo:[0,1] neg_hi:[0,1]
	v_pk_add_f32 v[48:49], v[48:49], v[52:53]
	v_pk_add_f32 v[52:53], v[58:59], v[78:79] neg_lo:[0,1] neg_hi:[0,1]
	v_pk_add_f32 v[60:61], v[58:59], v[78:79]
	v_mov_b32_e32 v40, v74
	v_mov_b32_e32 v41, v37
	v_pk_add_f32 v[64:65], v[64:65], v[36:37] neg_lo:[0,1] neg_hi:[0,1]
	v_pk_add_f32 v[34:35], v[34:35], v[70:71] neg_lo:[0,1] neg_hi:[0,1]
	v_mov_b32_e32 v31, v69
	v_mov_b32_e32 v78, v32
	;; [unrolled: 1-line block ×3, first 2 shown]
	v_pk_add_f32 v[32:33], v[68:69], v[32:33]
	v_pk_add_f32 v[40:41], v[40:41], v[38:39] neg_lo:[0,1] neg_hi:[0,1]
	v_pk_mul_f32 v[64:65], v[64:65], s[28:29]
	v_pk_add_f32 v[66:67], v[36:37], v[38:39]
	v_pk_add_f32 v[78:79], v[30:31], v[78:79] neg_lo:[0,1] neg_hi:[0,1]
	v_pk_add_f32 v[28:29], v[28:29], v[32:33]
	v_pk_mul_f32 v[34:35], v[34:35], s[22:23]
	v_pk_mul_f32 v[62:63], v[40:41], s[26:27]
	v_pk_add_f32 v[66:67], v[66:67], v[74:75]
	v_pk_mul_f32 v[68:69], v[78:79], s[24:25]
	v_pk_fma_f32 v[32:33], v[32:33], s[16:17], v[28:29] op_sel_hi:[1,0,1] neg_lo:[1,0,0] neg_hi:[1,0,0]
	v_pk_fma_f32 v[78:79], v[78:79], s[24:25], v[34:35]
	v_pk_fma_f32 v[40:41], v[40:41], s[26:27], v[64:65]
	v_pk_add_f32 v[78:79], v[78:79], v[32:33]
	v_pk_fma_f32 v[40:41], v[66:67], s[0:1], v[40:41] op_sel_hi:[1,0,1]
	v_add_lshl_u32 v44, v44, v89, 3
	v_pk_add_f32 v[80:81], v[78:79], v[40:41]
	v_pk_add_f32 v[40:41], v[78:79], v[40:41] neg_lo:[0,1] neg_hi:[0,1]
	v_mov_b32_e32 v78, v80
	v_mov_b32_e32 v79, v41
	v_mov_b32_e32 v37, v39
	v_mov_b32_e32 v71, v76
	v_mov_b32_e32 v31, v72
	ds_write2_b64 v44, v[28:29], v[78:79] offset1:17
	v_pk_add_f32 v[28:29], v[36:37], v[74:75] neg_lo:[0,1] neg_hi:[0,1]
	v_pk_add_f32 v[30:31], v[70:71], v[30:31] neg_lo:[0,1] neg_hi:[0,1]
	v_mov_b32_e32 v36, v68
	v_mov_b32_e32 v37, v35
	;; [unrolled: 1-line block ×6, first 2 shown]
	v_pk_fma_f32 v[36:37], v[30:31], s[20:21], v[36:37] op_sel_hi:[1,0,1] neg_lo:[1,0,1] neg_hi:[1,0,1]
	v_pk_fma_f32 v[38:39], v[28:29], s[18:19], v[38:39] op_sel_hi:[1,0,1] neg_lo:[1,0,1] neg_hi:[1,0,1]
	;; [unrolled: 1-line block ×4, first 2 shown]
	v_pk_add_f32 v[36:37], v[36:37], v[32:33]
	v_pk_fma_f32 v[38:39], v[66:67], s[0:1], v[38:39] op_sel_hi:[1,0,1]
	v_pk_add_f32 v[30:31], v[30:31], v[32:33]
	v_pk_fma_f32 v[28:29], v[66:67], s[0:1], v[28:29] op_sel_hi:[1,0,1]
	v_pk_add_f32 v[70:71], v[36:37], v[38:39]
	v_pk_add_f32 v[36:37], v[36:37], v[38:39] neg_lo:[0,1] neg_hi:[0,1]
	v_pk_add_f32 v[32:33], v[30:31], v[28:29] neg_lo:[0,1] neg_hi:[0,1]
	v_pk_add_f32 v[28:29], v[30:31], v[28:29]
	v_mov_b32_e32 v55, v47
	v_mov_b32_e32 v56, v50
	;; [unrolled: 1-line block ×12, first 2 shown]
	v_accvgpr_write_b32 a4, v44
	ds_write2_b64 v44, v[38:39], v[30:31] offset0:34 offset1:51
	ds_write2_b64 v44, v[28:29], v[36:37] offset0:68 offset1:85
	ds_write_b64 v44, v[40:41] offset:816
	s_and_saveexec_b64 s[0:1], s[2:3]
	s_cbranch_execz .LBB0_11
; %bb.10:
	v_accvgpr_read_b32 v28, a2
	v_mul_u32_u24_e32 v28, 0x77, v28
	v_accvgpr_read_b32 v29, a3
	v_add_lshl_u32 v28, v28, v29, 3
	v_mov_b32_e32 v61, v53
	v_mov_b32_e32 v49, v51
	;; [unrolled: 1-line block ×3, first 2 shown]
	ds_write2_b64 v28, v[42:43], v[60:61] offset1:17
	ds_write2_b64 v28, v[48:49], v[46:47] offset0:34 offset1:51
	ds_write2_b64 v28, v[54:55], v[56:57] offset0:68 offset1:85
	ds_write_b64 v28, v[58:59] offset:816
.LBB0_11:
	s_or_b64 exec, exec, s[0:1]
	s_movk_i32 s0, 0x50
	v_mov_b64_e32 v[28:29], s[6:7]
	v_mad_u64_u32 v[48:49], s[0:1], v90, s0, v[28:29]
	s_waitcnt lgkmcnt(0)
	s_barrier
	global_load_dwordx4 v[28:31], v[48:49], off offset:816
	global_load_dwordx4 v[44:47], v[48:49], off offset:832
	;; [unrolled: 1-line block ×5, first 2 shown]
	v_add_u32_e32 v86, 0x800, v88
	ds_read2_b64 v[60:63], v88 offset0:119 offset1:238
	ds_read_b64 v[50:51], v88
	v_add_u32_e32 v87, 0x1000, v88
	v_add_u32_e32 v85, 0x1800, v88
	;; [unrolled: 1-line block ×3, first 2 shown]
	ds_read2_b64 v[64:67], v86 offset0:101 offset1:220
	ds_read2_b64 v[68:71], v87 offset0:83 offset1:202
	;; [unrolled: 1-line block ×4, first 2 shown]
	s_mov_b32 s0, 0xbe903f40
	s_mov_b32 s20, 0xbf75a155
	;; [unrolled: 1-line block ×28, first 2 shown]
	s_waitcnt vmcnt(4)
	v_mov_b32_e32 v48, v29
	s_waitcnt lgkmcnt(5)
	v_pk_mul_f32 v[52:53], v[60:61], v[28:29] op_sel:[1,0] op_sel_hi:[0,1]
	v_mov_b32_e32 v52, v31
	s_waitcnt vmcnt(3) lgkmcnt(3)
	v_pk_mul_f32 v[80:81], v[64:65], v[44:45] op_sel:[0,1]
	v_mov_b32_e32 v82, v47
	s_waitcnt vmcnt(2) lgkmcnt(2)
	v_pk_mul_f32 v[90:91], v[68:69], v[40:41] op_sel:[0,1]
	;; [unrolled: 3-line block ×4, first 2 shown]
	v_mov_b32_e32 v102, v39
	v_pk_mul_f32 v[48:49], v[60:61], v[48:49] op_sel:[1,0] op_sel_hi:[0,1]
	v_mov_b32_e32 v104, v53
	v_pk_mul_f32 v[52:53], v[62:63], v[52:53] op_sel_hi:[1,0]
	v_pk_fma_f32 v[106:107], v[64:65], v[44:45], v[80:81] op_sel:[0,0,1] op_sel_hi:[1,0,0] neg_lo:[0,0,1] neg_hi:[0,0,1]
	v_pk_fma_f32 v[80:81], v[64:65], v[44:45], v[80:81] op_sel:[0,0,1] op_sel_hi:[1,0,0]
	v_pk_mul_f32 v[64:65], v[66:67], v[82:83] op_sel_hi:[1,0]
	v_pk_fma_f32 v[82:83], v[68:69], v[40:41], v[90:91] op_sel:[0,0,1] op_sel_hi:[1,1,0] neg_lo:[0,0,1] neg_hi:[0,0,1]
	v_pk_fma_f32 v[68:69], v[68:69], v[40:41], v[90:91] op_sel:[0,0,1] op_sel_hi:[1,0,0]
	;; [unrolled: 3-line block ×4, first 2 shown]
	v_pk_mul_f32 v[100:101], v[78:79], v[102:103] op_sel_hi:[1,0]
	v_pk_fma_f32 v[102:103], v[60:61], v[28:29], v[48:49] neg_lo:[0,0,1] neg_hi:[0,0,1]
	v_pk_fma_f32 v[104:105], v[60:61], v[28:29], v[104:105] op_sel:[1,0,0] op_sel_hi:[0,1,1]
	v_pk_fma_f32 v[108:109], v[62:63], v[30:31], v[52:53] op_sel:[0,0,1] op_sel_hi:[1,0,0] neg_lo:[0,0,1] neg_hi:[0,0,1]
	v_pk_fma_f32 v[110:111], v[62:63], v[30:31], v[52:53] op_sel:[0,0,1] op_sel_hi:[1,0,0]
	v_pk_fma_f32 v[116:117], v[70:71], v[42:43], v[90:91] op_sel:[0,0,1] op_sel_hi:[1,1,0] neg_lo:[0,0,1] neg_hi:[0,0,1]
	v_pk_fma_f32 v[52:53], v[70:71], v[42:43], v[90:91] op_sel:[0,0,1] op_sel_hi:[1,0,0]
	v_mov_b32_e32 v132, v102
	v_mov_b32_e32 v133, v104
	;; [unrolled: 1-line block ×3, first 2 shown]
	v_pk_fma_f32 v[118:119], v[78:79], v[38:39], v[100:101] op_sel:[0,0,1] op_sel_hi:[1,0,0] neg_lo:[0,0,1] neg_hi:[0,0,1]
	v_pk_fma_f32 v[78:79], v[78:79], v[38:39], v[100:101] op_sel:[0,0,1] op_sel_hi:[1,0,0]
	v_mov_b32_e32 v100, v108
	v_mov_b32_e32 v101, v111
	;; [unrolled: 1-line block ×3, first 2 shown]
	v_pk_add_f32 v[132:133], v[50:51], v[132:133]
	v_mov_b32_e32 v48, v106
	v_mov_b32_e32 v49, v81
	v_pk_fma_f32 v[112:113], v[66:67], v[46:47], v[64:65] op_sel:[0,0,1] op_sel_hi:[1,0,0] neg_lo:[0,0,1] neg_hi:[0,0,1]
	v_pk_fma_f32 v[114:115], v[66:67], v[46:47], v[64:65] op_sel:[0,0,1] op_sel_hi:[1,0,0]
	v_pk_add_f32 v[60:61], v[82:83], v[116:117] neg_lo:[0,1] neg_hi:[0,1]
	v_pk_add_f32 v[100:101], v[132:133], v[100:101]
	v_mov_b32_e32 v70, v94
	v_mov_b32_e32 v120, v112
	;; [unrolled: 1-line block ×3, first 2 shown]
	v_pk_add_f32 v[62:63], v[82:83], v[116:117]
	v_pk_mul_f32 v[52:53], v[60:61], s[0:1] op_sel:[1,0] op_sel_hi:[0,0]
	v_pk_add_f32 v[48:49], v[100:101], v[48:49]
	v_pk_add_f32 v[134:135], v[112:113], v[94:95]
	v_pk_add_f32 v[94:95], v[112:113], v[94:95] neg_lo:[0,1] neg_hi:[0,1]
	v_mov_b32_e32 v71, v73
	v_pk_fma_f32 v[126:127], v[62:63], s[20:21], v[52:53] op_sel_hi:[1,0,1]
	v_pk_fma_f32 v[52:53], v[62:63], s[20:21], v[52:53] op_sel_hi:[1,0,1] neg_lo:[0,0,1] neg_hi:[0,0,1]
	v_pk_add_f32 v[48:49], v[48:49], v[120:121]
	v_mov_b32_e32 v135, v94
	v_pk_add_f32 v[112:113], v[114:115], v[72:73] neg_lo:[0,1] neg_hi:[0,1]
	v_pk_add_f32 v[72:73], v[114:115], v[72:73]
	v_mov_b32_e32 v68, v126
	v_mov_b32_e32 v69, v53
	v_pk_add_f32 v[48:49], v[48:49], v[82:83]
	v_mov_b32_e32 v53, v127
	v_pk_add_f32 v[126:127], v[102:103], v[118:119]
	v_pk_add_f32 v[102:103], v[102:103], v[118:119] neg_lo:[0,1] neg_hi:[0,1]
	v_mov_b32_e32 v72, v113
	s_mov_b32 s1, s20
	v_pk_mul_f32 v[114:115], v[134:135], s[40:41]
	v_pk_fma_f32 v[90:91], v[74:75], v[34:35], v[96:97] op_sel:[0,0,1] op_sel_hi:[1,0,0] neg_lo:[0,0,1] neg_hi:[0,0,1]
	v_mov_b32_e32 v125, v79
	v_pk_add_f32 v[48:49], v[48:49], v[116:117]
	v_mov_b32_e32 v127, v102
	v_pk_add_f32 v[102:103], v[104:105], v[78:79] op_sel:[0,1] neg_lo:[0,1] neg_hi:[0,1]
	v_pk_add_f32 v[78:79], v[104:105], v[78:79] op_sel_hi:[0,1]
	v_pk_fma_f32 v[136:137], v[112:113], s[0:1], v[114:115] op_sel:[1,0,0] neg_lo:[1,0,0] neg_hi:[1,0,0]
	v_pk_fma_f32 v[138:139], v[72:73], s[0:1], v[114:115]
	v_pk_fma_f32 v[114:115], v[72:73], s[0:1], v[114:115] neg_lo:[0,0,1] neg_hi:[0,0,1]
	v_pk_fma_f32 v[74:75], v[74:75], v[34:35], v[96:97] op_sel:[0,0,1] op_sel_hi:[1,0,0]
	v_pk_add_f32 v[48:49], v[48:49], v[70:71]
	v_pk_add_f32 v[82:83], v[106:107], v[90:91]
	v_pk_add_f32 v[70:71], v[106:107], v[90:91] neg_lo:[0,1] neg_hi:[0,1]
	v_mov_b32_e32 v78, v102
	v_mov_b32_e32 v137, v139
	;; [unrolled: 1-line block ×3, first 2 shown]
	v_pk_mul_f32 v[114:115], v[126:127], s[48:49]
	v_mov_b32_e32 v122, v90
	v_mov_b32_e32 v123, v75
	v_mov_b32_e32 v83, v70
	v_pk_add_f32 v[90:91], v[80:81], v[74:75] neg_lo:[0,1] neg_hi:[0,1]
	v_pk_add_f32 v[74:75], v[80:81], v[74:75]
	s_mov_b32 s21, s36
	v_pk_fma_f32 v[150:151], v[102:103], s[46:47], v[114:115] neg_lo:[1,0,0] neg_hi:[1,0,0]
	v_pk_fma_f32 v[152:153], v[78:79], s[46:47], v[114:115]
	v_pk_fma_f32 v[114:115], v[78:79], s[46:47], v[114:115] neg_lo:[0,0,1] neg_hi:[0,0,1]
	v_mov_b32_e32 v96, v98
	v_mov_b32_e32 v97, v77
	v_pk_add_f32 v[48:49], v[48:49], v[122:123]
	v_mov_b32_e32 v74, v91
	v_pk_mul_f32 v[80:81], v[82:83], s[38:39]
	v_pk_mul_f32 v[100:101], v[82:83], s[20:21]
	v_mov_b32_e32 v142, v113
	v_mov_b32_e32 v143, v94
	;; [unrolled: 1-line block ×4, first 2 shown]
	v_pk_mul_f32 v[152:153], v[126:127], s[38:39]
	v_pk_mul_f32 v[64:65], v[60:61], s[6:7] op_sel:[1,0] op_sel_hi:[0,0]
	v_pk_mul_f32 v[130:131], v[60:61], s[22:23] op_sel:[1,0] op_sel_hi:[0,0]
	v_pk_add_f32 v[48:49], v[48:49], v[96:97]
	v_pk_fma_f32 v[96:97], v[90:91], s[18:19], v[80:81] op_sel:[1,0,0] neg_lo:[1,0,0] neg_hi:[1,0,0]
	v_pk_fma_f32 v[70:71], v[74:75], s[18:19], v[80:81]
	v_pk_fma_f32 v[80:81], v[74:75], s[18:19], v[80:81] neg_lo:[0,0,1] neg_hi:[0,0,1]
	v_pk_fma_f32 v[106:107], v[90:91], s[36:37], v[100:101] op_sel:[1,0,0] neg_lo:[1,0,0] neg_hi:[1,0,0]
	v_pk_fma_f32 v[116:117], v[74:75], s[36:37], v[100:101]
	v_pk_fma_f32 v[100:101], v[74:75], s[36:37], v[100:101] neg_lo:[0,0,1] neg_hi:[0,0,1]
	v_mov_b32_e32 v140, v134
	v_mov_b32_e32 v141, v73
	v_pk_mul_f32 v[94:95], v[142:143], s[42:43] op_sel_hi:[1,0]
	v_pk_mul_f32 v[142:143], v[142:143], s[44:45] op_sel_hi:[1,0]
	v_pk_fma_f32 v[154:155], v[102:103], s[18:19], v[152:153] neg_lo:[1,0,0] neg_hi:[1,0,0]
	v_pk_fma_f32 v[156:157], v[78:79], s[18:19], v[152:153]
	v_pk_fma_f32 v[152:153], v[78:79], s[18:19], v[152:153] neg_lo:[0,0,1] neg_hi:[0,0,1]
	v_pk_fma_f32 v[128:129], v[62:63], s[16:17], v[64:65] op_sel_hi:[1,0,1]
	v_pk_fma_f32 v[64:65], v[62:63], s[16:17], v[64:65] op_sel_hi:[1,0,1] neg_lo:[0,0,1] neg_hi:[0,0,1]
	v_mov_b32_e32 v97, v71
	v_mov_b32_e32 v107, v117
	;; [unrolled: 1-line block ×4, first 2 shown]
	v_pk_fma_f32 v[80:81], v[62:63], s[24:25], v[130:131] op_sel_hi:[1,0,1] neg_lo:[0,0,1] neg_hi:[0,0,1]
	v_pk_fma_f32 v[100:101], v[62:63], s[24:25], v[130:131] op_sel_hi:[1,0,1]
	v_pk_add_f32 v[130:131], v[108:109], v[98:99]
	v_pk_add_f32 v[98:99], v[108:109], v[98:99] neg_lo:[0,1] neg_hi:[0,1]
	v_pk_fma_f32 v[144:145], v[140:141], s[34:35], v[94:95] op_sel_hi:[1,0,1]
	v_pk_fma_f32 v[94:95], v[140:141], s[34:35], v[94:95] op_sel_hi:[1,0,1] neg_lo:[0,0,1] neg_hi:[0,0,1]
	v_pk_fma_f32 v[148:149], v[140:141], s[16:17], v[142:143] op_sel_hi:[1,0,1]
	v_pk_fma_f32 v[140:141], v[140:141], s[16:17], v[142:143] op_sel_hi:[1,0,1] neg_lo:[0,0,1] neg_hi:[0,0,1]
	v_mov_b32_e32 v155, v157
	v_mov_b32_e32 v157, v153
	s_mov_b32 s17, s44
	v_mov_b32_e32 v131, v98
	v_pk_add_f32 v[98:99], v[110:111], v[76:77] neg_lo:[0,1] neg_hi:[0,1]
	v_pk_add_f32 v[76:77], v[110:111], v[76:77]
	v_pk_add_f32 v[152:153], v[50:51], v[156:157]
	s_mov_b32 s45, s16
	v_pk_mul_f32 v[156:157], v[126:127], s[16:17]
	v_mov_b32_e32 v76, v99
	v_pk_fma_f32 v[158:159], v[102:103], s[44:45], v[156:157] neg_lo:[1,0,0] neg_hi:[1,0,0]
	v_pk_fma_f32 v[160:161], v[78:79], s[44:45], v[156:157]
	v_pk_fma_f32 v[156:157], v[78:79], s[44:45], v[156:157] neg_lo:[0,0,1] neg_hi:[0,0,1]
	v_pk_mul_f32 v[162:163], v[130:131], s[48:49]
	s_mov_b32 s25, s22
	v_mov_b32_e32 v156, v160
	v_pk_fma_f32 v[164:165], v[98:99], s[46:47], v[162:163] op_sel:[1,0,0] neg_lo:[1,0,0] neg_hi:[1,0,0]
	v_pk_fma_f32 v[166:167], v[76:77], s[46:47], v[162:163]
	v_pk_fma_f32 v[162:163], v[76:77], s[46:47], v[162:163] neg_lo:[0,0,1] neg_hi:[0,0,1]
	v_mov_b32_e32 v159, v161
	s_mov_b32 s23, s24
	v_mov_b32_e32 v162, v166
	v_pk_add_f32 v[158:159], v[50:51], v[158:159]
	v_pk_add_f32 v[156:157], v[50:51], v[156:157]
	v_mov_b32_e32 v165, v167
	v_pk_mul_f32 v[160:161], v[130:131], s[24:25]
	v_pk_add_f32 v[158:159], v[164:165], v[158:159]
	v_pk_add_f32 v[156:157], v[162:163], v[156:157]
	v_pk_fma_f32 v[162:163], v[98:99], s[22:23], v[160:161] op_sel:[1,0,0] neg_lo:[1,0,0] neg_hi:[1,0,0]
	v_pk_fma_f32 v[164:165], v[76:77], s[22:23], v[160:161]
	v_pk_mul_f32 v[104:105], v[126:127], s[24:25]
	v_pk_add_f32 v[150:151], v[50:51], v[150:151]
	v_mov_b32_e32 v163, v165
	v_mov_b32_e32 v124, v118
	;; [unrolled: 1-line block ×5, first 2 shown]
	v_pk_fma_f32 v[118:119], v[102:103], s[22:23], v[104:105] neg_lo:[1,0,0] neg_hi:[1,0,0]
	v_pk_fma_f32 v[128:129], v[78:79], s[22:23], v[104:105]
	v_pk_mul_f32 v[108:109], v[130:131], s[34:35]
	v_pk_add_f32 v[150:151], v[162:163], v[150:151]
	v_pk_mul_f32 v[162:163], v[130:131], s[20:21]
	v_pk_mul_f32 v[120:121], v[82:83], s[30:31]
	v_mov_b32_e32 v119, v129
	v_pk_fma_f32 v[110:111], v[98:99], s[42:43], v[108:109] op_sel:[1,0,0] neg_lo:[1,0,0] neg_hi:[1,0,0]
	v_pk_fma_f32 v[132:133], v[76:77], s[42:43], v[108:109]
	v_pk_fma_f32 v[166:167], v[98:99], s[36:37], v[162:163] op_sel:[1,0,0] neg_lo:[1,0,0] neg_hi:[1,0,0]
	v_pk_fma_f32 v[168:169], v[76:77], s[36:37], v[162:163]
	v_pk_add_f32 v[48:49], v[48:49], v[124:125]
	v_pk_fma_f32 v[122:123], v[90:91], s[28:29], v[120:121] op_sel:[1,0,0] neg_lo:[1,0,0] neg_hi:[1,0,0]
	v_pk_fma_f32 v[124:125], v[74:75], s[28:29], v[120:121]
	v_mov_b32_e32 v111, v133
	v_pk_add_f32 v[154:155], v[50:51], v[154:155]
	v_pk_add_f32 v[118:119], v[50:51], v[118:119]
	v_mov_b32_e32 v167, v169
	v_pk_fma_f32 v[104:105], v[78:79], s[22:23], v[104:105] neg_lo:[0,0,1] neg_hi:[0,0,1]
	v_mov_b32_e32 v123, v125
	v_pk_add_f32 v[154:155], v[166:167], v[154:155]
	v_pk_add_f32 v[110:111], v[110:111], v[118:119]
	v_mov_b32_e32 v129, v105
	v_pk_fma_f32 v[104:105], v[76:77], s[42:43], v[108:109] neg_lo:[0,0,1] neg_hi:[0,0,1]
	v_pk_mul_f32 v[118:119], v[82:83], s[16:17]
	v_mov_b32_e32 v133, v105
	v_pk_add_f32 v[104:105], v[50:51], v[128:129]
	v_pk_add_f32 v[108:109], v[122:123], v[154:155]
	v_pk_fma_f32 v[122:123], v[90:91], s[44:45], v[118:119] op_sel:[1,0,0] neg_lo:[1,0,0] neg_hi:[1,0,0]
	v_pk_fma_f32 v[128:129], v[74:75], s[44:45], v[118:119]
	v_pk_mul_f32 v[126:127], v[126:127], s[40:41]
	v_mov_b32_e32 v123, v129
	v_pk_add_f32 v[110:111], v[122:123], v[110:111]
	v_pk_mul_f32 v[122:123], v[134:135], s[24:25]
	s_mov_b32 s17, s6
	v_pk_add_f32 v[104:105], v[132:133], v[104:105]
	v_pk_add_f32 v[106:107], v[106:107], v[150:151]
	v_pk_fma_f32 v[132:133], v[112:113], s[22:23], v[122:123] op_sel:[1,0,0] neg_lo:[1,0,0] neg_hi:[1,0,0]
	v_pk_fma_f32 v[150:151], v[72:73], s[22:23], v[122:123]
	v_pk_add_f32 v[110:111], v[136:137], v[110:111]
	v_pk_fma_f32 v[102:103], v[102:103], s[0:1], v[126:127] neg_lo:[1,0,0] neg_hi:[1,0,0]
	v_pk_fma_f32 v[136:137], v[78:79], s[0:1], v[126:127]
	s_mov_b32 s7, s16
	v_pk_mul_f32 v[130:131], v[130:131], s[16:17]
	v_pk_mul_f32 v[134:135], v[134:135], s[30:31]
	v_pk_add_f32 v[96:97], v[96:97], v[158:159]
	v_mov_b32_e32 v133, v151
	v_pk_fma_f32 v[122:123], v[72:73], s[22:23], v[122:123] neg_lo:[0,0,1] neg_hi:[0,0,1]
	v_pk_mul_f32 v[82:83], v[82:83], s[24:25]
	v_mov_b32_e32 v103, v137
	v_pk_fma_f32 v[98:99], v[98:99], s[6:7], v[130:131] op_sel:[1,0,0] neg_lo:[1,0,0] neg_hi:[1,0,0]
	v_pk_fma_f32 v[154:155], v[76:77], s[6:7], v[130:131]
	v_pk_fma_f32 v[112:113], v[112:113], s[28:29], v[134:135] op_sel:[1,0,0] neg_lo:[1,0,0] neg_hi:[1,0,0]
	v_pk_fma_f32 v[158:159], v[72:73], s[28:29], v[134:135]
	v_pk_fma_f32 v[72:73], v[72:73], s[28:29], v[134:135] neg_lo:[0,0,1] neg_hi:[0,0,1]
	v_pk_fma_f32 v[120:121], v[74:75], s[28:29], v[120:121] neg_lo:[0,0,1] neg_hi:[0,0,1]
	;; [unrolled: 1-line block ×3, first 2 shown]
	v_pk_add_f32 v[96:97], v[132:133], v[96:97]
	v_pk_fma_f32 v[90:91], v[90:91], s[22:23], v[82:83] op_sel:[1,0,0] neg_lo:[1,0,0] neg_hi:[1,0,0]
	v_pk_fma_f32 v[132:133], v[74:75], s[22:23], v[82:83]
	v_mov_b32_e32 v99, v155
	v_mov_b32_e32 v113, v159
	;; [unrolled: 1-line block ×3, first 2 shown]
	v_pk_add_f32 v[72:73], v[50:51], v[102:103]
	v_pk_fma_f32 v[74:75], v[74:75], s[22:23], v[82:83] neg_lo:[0,0,1] neg_hi:[0,0,1]
	v_pk_fma_f32 v[160:161], v[76:77], s[22:23], v[160:161] neg_lo:[0,0,1] neg_hi:[0,0,1]
	v_mov_b32_e32 v91, v133
	v_pk_add_f32 v[72:73], v[98:99], v[72:73]
	v_mov_b32_e32 v133, v75
	v_pk_fma_f32 v[74:75], v[78:79], s[0:1], v[126:127] neg_lo:[0,0,1] neg_hi:[0,0,1]
	v_pk_add_f32 v[114:115], v[50:51], v[114:115]
	v_pk_fma_f32 v[162:163], v[76:77], s[36:37], v[162:163] neg_lo:[0,0,1] neg_hi:[0,0,1]
	v_pk_add_f32 v[72:73], v[90:91], v[72:73]
	v_mov_b32_e32 v137, v75
	v_pk_fma_f32 v[74:75], v[76:77], s[6:7], v[130:131] neg_lo:[0,0,1] neg_hi:[0,0,1]
	v_mov_b32_e32 v165, v161
	v_mov_b32_e32 v155, v75
	v_pk_add_f32 v[50:51], v[50:51], v[136:137]
	v_pk_add_f32 v[78:79], v[112:113], v[72:73]
	v_pk_add_f32 v[72:73], v[164:165], v[114:115]
	v_mov_b32_e32 v169, v163
	v_mov_b32_e32 v125, v121
	;; [unrolled: 1-line block ×4, first 2 shown]
	v_pk_add_f32 v[50:51], v[154:155], v[50:51]
	v_pk_add_f32 v[74:75], v[168:169], v[152:153]
	;; [unrolled: 1-line block ×4, first 2 shown]
	v_mov_b32_e32 v151, v123
	v_mov_b32_e32 v95, v145
	;; [unrolled: 1-line block ×5, first 2 shown]
	v_pk_mul_f32 v[80:81], v[60:61], s[28:29] op_sel:[1,0] op_sel_hi:[0,0]
	v_mov_b32_e32 v142, v148
	v_mov_b32_e32 v143, v141
	v_pk_add_f32 v[50:51], v[132:133], v[50:51]
	v_pk_add_f32 v[74:75], v[124:125], v[74:75]
	v_mov_b32_e32 v129, v119
	v_pk_add_f32 v[70:71], v[150:151], v[70:71]
	v_pk_add_f32 v[82:83], v[94:95], v[106:107]
	;; [unrolled: 1-line block ×10, first 2 shown]
	v_pk_fma_f32 v[64:65], v[62:63], s[26:27], v[80:81] op_sel_hi:[1,0,1] neg_lo:[0,0,1] neg_hi:[0,0,1]
	v_pk_fma_f32 v[66:67], v[62:63], s[26:27], v[80:81] op_sel_hi:[1,0,1]
	v_pk_mul_f32 v[62:63], v[62:63], s[34:35] op_sel_hi:[1,0]
	v_pk_add_f32 v[98:99], v[138:139], v[76:77]
	v_mov_b32_e32 v76, v64
	v_mov_b32_e32 v77, v67
	;; [unrolled: 1-line block ×3, first 2 shown]
	v_pk_fma_f32 v[64:65], v[60:61], s[18:19], v[62:63] op_sel:[1,0,0] op_sel_hi:[0,0,1] neg_lo:[1,0,0] neg_hi:[1,0,0]
	v_pk_fma_f32 v[60:61], v[60:61], s[18:19], v[62:63] op_sel:[1,0,0] op_sel_hi:[0,0,1]
	v_mov_b32_e32 v141, v149
	v_mov_b32_e32 v62, v64
	;; [unrolled: 1-line block ×4, first 2 shown]
	v_pk_add_f32 v[90:91], v[140:141], v[108:109]
	v_pk_add_f32 v[76:77], v[76:77], v[110:111]
	;; [unrolled: 1-line block ×4, first 2 shown]
	v_add_u32_e32 v60, 0xc00, v88
	v_pk_add_f32 v[70:71], v[120:121], v[90:91]
	v_pk_add_f32 v[72:73], v[100:101], v[94:95]
	;; [unrolled: 1-line block ×3, first 2 shown]
	ds_write_b64 v88, v[48:49]
	ds_write_b64 v88, v[50:51] offset:952
	v_add_u32_e32 v61, 0x400, v88
	ds_write2_b64 v60, v[76:77], v[78:79] offset0:92 offset1:211
	v_add_u32_e32 v62, 0x1400, v88
	v_add_u32_e32 v60, 0x1c00, v88
	ds_write2_b64 v61, v[68:69], v[70:71] offset0:110 offset1:229
	ds_write2_b64 v62, v[80:81], v[82:83] offset0:74 offset1:193
	;; [unrolled: 1-line block ×3, first 2 shown]
	ds_write_b64 v88, v[52:53] offset:9520
	s_waitcnt lgkmcnt(0)
	s_barrier
	s_and_saveexec_b64 s[0:1], s[4:5]
	s_cbranch_execz .LBB0_13
; %bb.12:
	v_mov_b32_e32 v89, 0
	v_lshl_add_u64 v[64:65], s[12:13], 0, v[88:89]
	v_add_co_u32_e32 v66, vcc, 0x2000, v64
	s_movk_i32 s16, 0x3000
	s_nop 0
	v_addc_co_u32_e32 v67, vcc, 0, v65, vcc
	global_load_dwordx2 v[66:67], v[66:67], off offset:2280
	s_mov_b64 s[6:7], 0x28e8
	v_add_co_u32_e32 v94, vcc, s16, v64
	v_lshl_add_u64 v[90:91], v[64:65], 0, s[6:7]
	s_nop 0
	v_addc_co_u32_e32 v95, vcc, 0, v65, vcc
	global_load_dwordx2 v[114:115], v[90:91], off offset:616
	global_load_dwordx2 v[116:117], v[90:91], off offset:1232
	;; [unrolled: 1-line block ×7, first 2 shown]
	s_nop 0
	global_load_dwordx2 v[90:91], v[94:95], off offset:3112
	global_load_dwordx2 v[128:129], v[94:95], off offset:3728
	s_movk_i32 s6, 0x4000
	v_add_co_u32_e32 v64, vcc, s6, v64
	s_nop 1
	v_addc_co_u32_e32 v65, vcc, 0, v65, vcc
	global_load_dwordx2 v[130:131], v[64:65], off offset:248
	global_load_dwordx2 v[132:133], v[64:65], off offset:864
	;; [unrolled: 1-line block ×5, first 2 shown]
	ds_read_b64 v[94:95], v88
	global_load_dwordx2 v[140:141], v[64:65], off offset:3328
	global_load_dwordx2 v[142:143], v[64:65], off offset:3944
	s_waitcnt vmcnt(16) lgkmcnt(0)
	v_mul_f32_e32 v63, v95, v67
	v_mul_f32_e32 v65, v94, v67
	v_fma_f32 v64, v94, v66, -v63
	v_fmac_f32_e32 v65, v95, v66
	ds_write_b64 v88, v[64:65]
	ds_read2_b64 v[64:67], v88 offset0:77 offset1:154
	ds_read2_b64 v[94:97], v61 offset0:103 offset1:180
	;; [unrolled: 1-line block ×6, first 2 shown]
	s_waitcnt vmcnt(15) lgkmcnt(5)
	v_mul_f32_e32 v63, v65, v115
	v_mul_f32_e32 v145, v64, v115
	s_waitcnt vmcnt(14)
	v_mul_f32_e32 v89, v67, v117
	v_mul_f32_e32 v115, v66, v117
	s_waitcnt vmcnt(13) lgkmcnt(4)
	v_mul_f32_e32 v92, v95, v119
	v_mul_f32_e32 v117, v94, v119
	s_waitcnt vmcnt(12)
	v_mul_f32_e32 v93, v97, v121
	v_mul_f32_e32 v119, v96, v121
	;; [unrolled: 6-line block ×3, first 2 shown]
	s_waitcnt lgkmcnt(2)
	v_mul_f32_e32 v148, v103, v125
	v_mul_f32_e32 v127, v102, v125
	s_waitcnt vmcnt(8)
	v_mul_f32_e32 v149, v105, v91
	v_mul_f32_e32 v125, v104, v91
	s_waitcnt vmcnt(7) lgkmcnt(1)
	v_mul_f32_e32 v150, v107, v129
	v_mul_f32_e32 v91, v106, v129
	s_waitcnt vmcnt(6)
	v_mul_f32_e32 v151, v109, v131
	v_mul_f32_e32 v129, v108, v131
	v_fma_f32 v144, v64, v114, -v63
	v_fmac_f32_e32 v145, v65, v114
	v_fma_f32 v114, v66, v116, -v89
	v_fmac_f32_e32 v115, v67, v116
	;; [unrolled: 2-line block ×10, first 2 shown]
	ds_write2_b64 v88, v[144:145], v[114:115] offset0:77 offset1:154
	ds_write2_b64 v61, v[116:117], v[118:119] offset0:103 offset1:180
	;; [unrolled: 1-line block ×5, first 2 shown]
	ds_read2_b64 v[62:65], v60 offset0:105 offset1:182
	s_waitcnt vmcnt(5) lgkmcnt(6)
	v_mul_f32_e32 v131, v111, v133
	v_mul_f32_e32 v67, v110, v133
	s_waitcnt vmcnt(4)
	v_mul_f32_e32 v61, v113, v135
	v_mul_f32_e32 v87, v112, v135
	ds_read2_b64 v[94:97], v84 offset0:131 offset1:208
	v_fma_f32 v66, v110, v132, -v131
	v_fmac_f32_e32 v67, v111, v132
	v_fma_f32 v86, v112, v134, -v61
	v_fmac_f32_e32 v87, v113, v134
	ds_write2_b64 v85, v[66:67], v[86:87] offset0:79 offset1:156
	s_waitcnt vmcnt(3) lgkmcnt(2)
	v_mul_f32_e32 v61, v63, v137
	v_mul_f32_e32 v67, v62, v137
	v_fma_f32 v66, v62, v136, -v61
	v_fmac_f32_e32 v67, v63, v136
	s_waitcnt vmcnt(2)
	v_mul_f32_e32 v61, v65, v139
	v_mul_f32_e32 v63, v64, v139
	v_fma_f32 v62, v64, v138, -v61
	v_fmac_f32_e32 v63, v65, v138
	ds_write2_b64 v60, v[66:67], v[62:63] offset0:105 offset1:182
	s_waitcnt vmcnt(1) lgkmcnt(2)
	v_mul_f32_e32 v60, v95, v141
	v_mul_f32_e32 v61, v94, v141
	s_waitcnt vmcnt(0)
	v_mul_f32_e32 v62, v97, v143
	v_mul_f32_e32 v63, v96, v143
	v_fma_f32 v60, v94, v140, -v60
	v_fmac_f32_e32 v61, v95, v140
	v_fma_f32 v62, v96, v142, -v62
	v_fmac_f32_e32 v63, v97, v142
	ds_write2_b64 v84, v[60:61], v[62:63] offset0:131 offset1:208
.LBB0_13:
	s_or_b64 exec, exec, s[0:1]
	s_waitcnt lgkmcnt(0)
	s_barrier
	s_and_saveexec_b64 s[0:1], s[4:5]
	s_cbranch_execz .LBB0_15
; %bb.14:
	v_add_u32_e32 v0, 0x800, v88
	ds_read2_b64 v[48:51], v88 offset1:77
	ds_read2_b64 v[68:71], v88 offset0:154 offset1:231
	ds_read2_b64 v[76:79], v0 offset0:52 offset1:129
	v_add_u32_e32 v0, 0xc00, v88
	ds_read2_b64 v[80:83], v0 offset0:78 offset1:155
	v_add_u32_e32 v0, 0x1000, v88
	;; [unrolled: 2-line block ×3, first 2 shown]
	ds_read2_b64 v[52:55], v0 offset0:2 offset1:79
	ds_read2_b64 v[56:59], v0 offset0:156 offset1:233
	v_add_u32_e32 v0, 0x2000, v88
	ds_read2_b64 v[0:3], v0 offset0:54 offset1:131
	ds_read_b64 v[172:173], v88 offset:9856
.LBB0_15:
	s_or_b64 exec, exec, s[0:1]
	s_waitcnt lgkmcnt(0)
	v_pk_add_f32 v[138:139], v[172:173], v[50:51]
	v_pk_add_f32 v[142:143], v[50:51], v[172:173] neg_lo:[0,1] neg_hi:[0,1]
	s_mov_b32 s16, 0xbf7ee86f
	s_mov_b32 s20, 0xbf7ba420
	v_pk_add_f32 v[86:87], v[68:69], v[2:3] neg_lo:[0,1] neg_hi:[0,1]
	v_pk_add_f32 v[64:65], v[68:69], v[2:3]
	v_mov_b32_e32 v84, v143
	v_mov_b32_e32 v85, v139
	s_mov_b32 s17, 0x3dbcf732
	s_mov_b32 s21, 0xbe3c28d5
	v_mov_b32_e32 v140, v87
	v_mov_b32_e32 v141, v65
	v_pk_mul_f32 v[98:99], v[84:85], s[16:17]
	v_mov_b32_e32 v224, v138
	v_mov_b32_e32 v225, v142
	s_mov_b32 s0, s17
	s_mov_b32 s1, s16
	;; [unrolled: 1-line block ×4, first 2 shown]
	v_mov_b32_e32 v96, v64
	v_mov_b32_e32 v97, v86
	v_pk_fma_f32 v[60:61], v[224:225], s[0:1], v[98:99] neg_lo:[0,0,1] neg_hi:[0,0,1]
	v_pk_fma_f32 v[102:103], v[224:225], s[0:1], v[98:99]
	v_pk_mul_f32 v[112:113], v[140:141], s[46:47]
	v_mov_b32_e32 v61, v103
	v_pk_fma_f32 v[62:63], v[96:97], s[20:21], v[112:113] neg_lo:[0,0,1] neg_hi:[0,0,1]
	v_pk_fma_f32 v[114:115], v[96:97], s[20:21], v[112:113]
	s_mov_b32 s39, 0x3f763a35
	v_pk_add_f32 v[132:133], v[70:71], v[0:1] neg_lo:[0,1] neg_hi:[0,1]
	v_pk_add_f32 v[60:61], v[48:49], v[60:61]
	v_mov_b32_e32 v63, v115
	s_mov_b32 s24, 0xbe8c1d8e
	s_mov_b32 s6, s39
	v_pk_add_f32 v[130:131], v[0:1], v[70:71]
	v_pk_add_f32 v[60:61], v[62:63], v[60:61]
	s_mov_b32 s25, 0xbf763a35
	v_pk_mul_f32 v[62:63], v[132:133], s[6:7] op_sel_hi:[1,0]
	v_pk_add_f32 v[128:129], v[76:77], v[58:59] neg_lo:[0,1] neg_hi:[0,1]
	v_pk_fma_f32 v[168:169], v[130:131], s[24:25], v[62:63] op_sel:[0,0,1] op_sel_hi:[1,0,0] neg_lo:[0,0,1] neg_hi:[0,0,1]
	v_pk_fma_f32 v[126:127], v[130:131], s[24:25], v[62:63] op_sel:[0,0,1] op_sel_hi:[1,0,0]
	v_mov_b32_e32 v62, v168
	v_mov_b32_e32 v63, v127
	s_mov_b32 s34, 0x3eb8f4ab
	v_pk_add_f32 v[122:123], v[58:59], v[76:77]
	v_pk_add_f32 v[60:61], v[62:63], v[60:61]
	s_mov_b32 s22, 0x3f6eb680
	v_pk_mul_f32 v[62:63], v[128:129], s[34:35] op_sel_hi:[1,0]
	v_pk_add_f32 v[120:121], v[78:79], v[56:57] neg_lo:[0,1] neg_hi:[0,1]
	v_pk_fma_f32 v[66:67], v[122:123], s[22:23], v[62:63] op_sel:[0,0,1] op_sel_hi:[1,0,0] neg_lo:[0,0,1] neg_hi:[0,0,1]
	v_pk_fma_f32 v[136:137], v[122:123], s[22:23], v[62:63] op_sel:[0,0,1] op_sel_hi:[1,0,0]
	v_mov_b32_e32 v62, v66
	v_mov_b32_e32 v63, v137
	s_mov_b32 s36, 0xbf65296c
	v_pk_add_f32 v[118:119], v[56:57], v[78:79]
	v_pk_add_f32 v[60:61], v[62:63], v[60:61]
	s_mov_b32 s30, 0x3ee437d1
	v_pk_mul_f32 v[62:63], v[120:121], s[36:37] op_sel_hi:[1,0]
	v_accvgpr_write_b32 a7, v67
	v_pk_fma_f32 v[66:67], v[118:119], s[30:31], v[62:63] op_sel:[0,0,1] op_sel_hi:[1,0,0] neg_lo:[0,0,1] neg_hi:[0,0,1]
	v_pk_fma_f32 v[146:147], v[118:119], s[30:31], v[62:63] op_sel:[0,0,1] op_sel_hi:[1,0,0]
	v_pk_add_f32 v[116:117], v[80:81], v[54:55] neg_lo:[0,1] neg_hi:[0,1]
	v_mov_b32_e32 v62, v66
	v_mov_b32_e32 v63, v147
	s_mov_b32 s26, 0xbf59a7d5
	s_mov_b32 s28, 0xbf06c442
	v_pk_add_f32 v[110:111], v[54:55], v[80:81]
	v_pk_add_f32 v[60:61], v[62:63], v[60:61]
	s_mov_b32 s27, 0x3f06c442
	v_pk_mul_f32 v[62:63], v[116:117], s[28:29] op_sel_hi:[1,0]
	v_accvgpr_write_b32 a9, v67
	v_pk_fma_f32 v[66:67], v[110:111], s[26:27], v[62:63] op_sel:[0,0,1] op_sel_hi:[1,0,0] neg_lo:[0,0,1] neg_hi:[0,0,1]
	v_pk_fma_f32 v[150:151], v[110:111], s[26:27], v[62:63] op_sel:[0,0,1] op_sel_hi:[1,0,0]
	s_mov_b32 s42, 0xbf4c4adb
	v_pk_add_f32 v[108:109], v[82:83], v[52:53] neg_lo:[0,1] neg_hi:[0,1]
	v_mov_b32_e32 v62, v66
	v_mov_b32_e32 v63, v151
	s_mov_b32 s43, 0xbf1a4643
	s_mov_b32 s58, 0x3f4c4adb
	v_pk_add_f32 v[106:107], v[52:53], v[82:83]
	v_pk_add_f32 v[60:61], v[62:63], v[60:61]
	s_mov_b32 s52, s43
	v_pk_mul_f32 v[62:63], v[108:109], s[58:59] op_sel_hi:[1,0]
	v_accvgpr_write_b32 a11, v67
	v_pk_fma_f32 v[66:67], v[106:107], s[52:53], v[62:63] op_sel:[0,0,1] op_sel_hi:[1,0,0] neg_lo:[0,0,1] neg_hi:[0,0,1]
	v_pk_fma_f32 v[154:155], v[106:107], s[52:53], v[62:63] op_sel:[0,0,1] op_sel_hi:[1,0,0]
	v_pk_add_f32 v[104:105], v[72:73], v[74:75] neg_lo:[0,1] neg_hi:[0,1]
	v_mov_b32_e32 v62, v66
	v_mov_b32_e32 v63, v155
	s_mov_b32 s40, 0x3f2c7751
	v_pk_add_f32 v[100:101], v[74:75], v[72:73]
	v_pk_add_f32 v[60:61], v[62:63], v[60:61]
	s_mov_b32 s6, 0x3f3d2fb0
	v_pk_mul_f32 v[62:63], v[104:105], s[40:41] op_sel_hi:[1,0]
	v_accvgpr_write_b32 a13, v67
	v_pk_fma_f32 v[66:67], v[100:101], s[6:7], v[62:63] op_sel:[0,0,1] op_sel_hi:[1,0,0] neg_lo:[0,0,1] neg_hi:[0,0,1]
	v_pk_fma_f32 v[158:159], v[100:101], s[6:7], v[62:63] op_sel:[0,0,1] op_sel_hi:[1,0,0]
	s_mov_b32 s18, s25
	s_mov_b32 s19, s24
	v_mov_b32_e32 v62, v66
	v_mov_b32_e32 v63, v159
	v_pk_mul_f32 v[160:161], v[84:85], s[18:19]
	s_mov_b32 s18, s27
	s_mov_b32 s19, s26
	v_pk_add_f32 v[62:63], v[62:63], v[60:61]
	v_pk_fma_f32 v[60:61], v[224:225], s[24:25], v[160:161] neg_lo:[0,0,1] neg_hi:[0,0,1]
	v_pk_fma_f32 v[162:163], v[224:225], s[24:25], v[160:161]
	v_pk_mul_f32 v[164:165], v[140:141], s[18:19]
	v_accvgpr_write_b32 a15, v67
	v_mov_b32_e32 v61, v163
	v_pk_fma_f32 v[66:67], v[96:97], s[26:27], v[164:165] neg_lo:[0,0,1] neg_hi:[0,0,1]
	v_pk_fma_f32 v[166:167], v[96:97], s[26:27], v[164:165]
	v_pk_add_f32 v[60:61], v[48:49], v[60:61]
	v_mov_b32_e32 v67, v167
	v_pk_add_f32 v[60:61], v[66:67], v[60:61]
	v_pk_mul_f32 v[66:67], v[132:133], s[40:41] op_sel_hi:[1,0]
	v_mov_b64_e32 v[156:157], v[172:173]
	v_pk_fma_f32 v[90:91], v[130:131], s[6:7], v[66:67] op_sel:[0,0,1] op_sel_hi:[1,0,0] neg_lo:[0,0,1] neg_hi:[0,0,1]
	v_pk_fma_f32 v[170:171], v[130:131], s[6:7], v[66:67] op_sel:[0,0,1] op_sel_hi:[1,0,0]
	v_mov_b32_e32 v66, v90
	v_mov_b32_e32 v67, v171
	v_pk_add_f32 v[60:61], v[66:67], v[60:61]
	v_pk_mul_f32 v[66:67], v[128:129], s[36:37] op_sel_hi:[1,0]
	s_mov_b32 s60, s21
	v_pk_fma_f32 v[172:173], v[122:123], s[30:31], v[66:67] op_sel:[0,0,1] op_sel_hi:[1,0,0] neg_lo:[0,0,1] neg_hi:[0,0,1]
	v_pk_fma_f32 v[174:175], v[122:123], s[30:31], v[66:67] op_sel:[0,0,1] op_sel_hi:[1,0,0]
	v_mov_b32_e32 v66, v172
	v_mov_b32_e32 v67, v175
	v_pk_add_f32 v[60:61], v[66:67], v[60:61]
	v_pk_mul_f32 v[66:67], v[120:121], s[60:61] op_sel_hi:[1,0]
	s_mov_b32 s56, 0x3f7ee86f
	v_pk_fma_f32 v[176:177], v[118:119], s[20:21], v[66:67] op_sel:[0,0,1] op_sel_hi:[1,0,0] neg_lo:[0,0,1] neg_hi:[0,0,1]
	v_pk_fma_f32 v[178:179], v[118:119], s[20:21], v[66:67] op_sel:[0,0,1] op_sel_hi:[1,0,0]
	v_mov_b32_e32 v66, v176
	v_mov_b32_e32 v67, v179
	v_pk_add_f32 v[60:61], v[66:67], v[60:61]
	s_mov_b32 s54, s17
	v_pk_mul_f32 v[66:67], v[116:117], s[56:57] op_sel_hi:[1,0]
	s_mov_b32 s44, 0xbeb8f4ab
	v_pk_fma_f32 v[180:181], v[110:111], s[54:55], v[66:67] op_sel:[0,0,1] op_sel_hi:[1,0,0] neg_lo:[0,0,1] neg_hi:[0,0,1]
	v_pk_fma_f32 v[182:183], v[110:111], s[54:55], v[66:67] op_sel:[0,0,1] op_sel_hi:[1,0,0]
	v_mov_b32_e32 v66, v180
	v_mov_b32_e32 v67, v183
	v_pk_add_f32 v[60:61], v[66:67], v[60:61]
	v_pk_mul_f32 v[66:67], v[108:109], s[44:45] op_sel_hi:[1,0]
	v_pk_mul_f32 v[188:189], v[84:85], s[42:43]
	v_pk_fma_f32 v[184:185], v[106:107], s[22:23], v[66:67] op_sel:[0,0,1] op_sel_hi:[1,0,0] neg_lo:[0,0,1] neg_hi:[0,0,1]
	v_pk_fma_f32 v[186:187], v[106:107], s[22:23], v[66:67] op_sel:[0,0,1] op_sel_hi:[1,0,0]
	v_mov_b32_e32 v66, v184
	v_mov_b32_e32 v67, v187
	v_pk_add_f32 v[60:61], v[66:67], v[60:61]
	v_pk_mul_f32 v[66:67], v[104:105], s[42:43] op_sel_hi:[1,0]
	s_mov_b32 s18, s43
	v_pk_fma_f32 v[192:193], v[100:101], s[52:53], v[66:67] op_sel:[0,0,1] op_sel_hi:[1,0,0] neg_lo:[0,0,1] neg_hi:[0,0,1]
	v_pk_fma_f32 v[194:195], v[100:101], s[52:53], v[66:67] op_sel:[0,0,1] op_sel_hi:[1,0,0]
	v_mov_b32_e32 v66, v192
	v_mov_b32_e32 v67, v195
	s_mov_b32 s19, s42
	s_mov_b32 s48, s39
	;; [unrolled: 1-line block ×3, first 2 shown]
	v_pk_add_f32 v[60:61], v[66:67], v[60:61]
	v_pk_fma_f32 v[190:191], v[224:225], s[18:19], v[188:189]
	v_pk_fma_f32 v[66:67], v[224:225], s[18:19], v[188:189] neg_lo:[0,0,1] neg_hi:[0,0,1]
	v_pk_mul_f32 v[196:197], v[140:141], s[48:49]
	s_mov_b32 s38, s24
	v_accvgpr_write_b32 a17, v91
	v_mov_b32_e32 v67, v191
	v_pk_fma_f32 v[198:199], v[96:97], s[38:39], v[196:197]
	v_pk_fma_f32 v[90:91], v[96:97], s[38:39], v[196:197] neg_lo:[0,0,1] neg_hi:[0,0,1]
	v_pk_add_f32 v[66:67], v[48:49], v[66:67]
	v_mov_b32_e32 v91, v199
	v_pk_add_f32 v[66:67], v[90:91], v[66:67]
	v_pk_mul_f32 v[90:91], v[132:133], s[44:45] op_sel_hi:[1,0]
	s_mov_b32 s50, 0xbf2c7751
	v_pk_fma_f32 v[200:201], v[130:131], s[22:23], v[90:91] op_sel:[0,0,1] op_sel_hi:[1,0,0]
	v_pk_fma_f32 v[202:203], v[130:131], s[22:23], v[90:91] op_sel:[0,0,1] op_sel_hi:[1,0,0] neg_lo:[0,0,1] neg_hi:[0,0,1]
	v_mov_b32_e32 v91, v201
	v_mov_b32_e32 v90, v202
	v_pk_add_f32 v[66:67], v[90:91], v[66:67]
	v_pk_mul_f32 v[90:91], v[128:129], s[28:29] op_sel_hi:[1,0]
	s_mov_b32 s48, 0x3f65296c
	v_pk_fma_f32 v[204:205], v[122:123], s[26:27], v[90:91] op_sel:[0,0,1] op_sel_hi:[1,0,0]
	v_pk_fma_f32 v[206:207], v[122:123], s[26:27], v[90:91] op_sel:[0,0,1] op_sel_hi:[1,0,0] neg_lo:[0,0,1] neg_hi:[0,0,1]
	v_mov_b32_e32 v91, v205
	;; [unrolled: 7-line block ×3, first 2 shown]
	v_mov_b32_e32 v90, v210
	v_pk_add_f32 v[66:67], v[90:91], v[66:67]
	v_pk_mul_f32 v[90:91], v[116:117], s[50:51] op_sel_hi:[1,0]
	v_pk_mul_f32 v[248:249], v[116:117], s[60:61] op_sel_hi:[1,0]
	v_pk_fma_f32 v[212:213], v[110:111], s[6:7], v[90:91] op_sel:[0,0,1] op_sel_hi:[1,0,0]
	v_pk_fma_f32 v[214:215], v[110:111], s[6:7], v[90:91] op_sel:[0,0,1] op_sel_hi:[1,0,0] neg_lo:[0,0,1] neg_hi:[0,0,1]
	v_mov_b32_e32 v91, v213
	v_mov_b32_e32 v90, v214
	v_pk_add_f32 v[66:67], v[90:91], v[66:67]
	v_pk_mul_f32 v[90:91], v[108:109], s[60:61] op_sel_hi:[1,0]
	v_pk_mul_f32 v[144:145], v[84:85], s[28:29]
	v_pk_fma_f32 v[216:217], v[106:107], s[20:21], v[90:91] op_sel:[0,0,1] op_sel_hi:[1,0,0]
	v_pk_fma_f32 v[218:219], v[106:107], s[20:21], v[90:91] op_sel:[0,0,1] op_sel_hi:[1,0,0] neg_lo:[0,0,1] neg_hi:[0,0,1]
	v_mov_b32_e32 v91, v217
	v_mov_b32_e32 v90, v218
	v_pk_add_f32 v[66:67], v[90:91], v[66:67]
	v_pk_mul_f32 v[90:91], v[104:105], s[48:49] op_sel_hi:[1,0]
	s_mov_b32 s60, s26
	v_pk_fma_f32 v[220:221], v[100:101], s[30:31], v[90:91] op_sel:[0,0,1] op_sel_hi:[1,0,0]
	v_pk_fma_f32 v[222:223], v[100:101], s[30:31], v[90:91] op_sel:[0,0,1] op_sel_hi:[1,0,0] neg_lo:[0,0,1] neg_hi:[0,0,1]
	v_mov_b32_e32 v91, v221
	v_mov_b32_e32 v90, v222
	s_mov_b32 s61, s28
	v_pk_add_f32 v[66:67], v[90:91], v[66:67]
	v_pk_mul_f32 v[90:91], v[86:87], s[48:49] op_sel:[1,0] op_sel_hi:[0,0]
	v_pk_fma_f32 v[148:149], v[224:225], s[60:61], v[144:145]
	v_pk_fma_f32 v[152:153], v[224:225], s[60:61], v[144:145] neg_lo:[1,0,0] neg_hi:[1,0,0]
	v_pk_fma_f32 v[144:145], v[224:225], s[60:61], v[144:145] neg_lo:[0,0,1] neg_hi:[0,0,1]
	v_pk_fma_f32 v[94:95], v[64:65], s[30:31], v[90:91] op_sel_hi:[1,0,1]
	v_pk_fma_f32 v[64:65], v[64:65], s[30:31], v[90:91] op_sel_hi:[1,0,1] neg_lo:[0,0,1] neg_hi:[0,0,1]
	v_pk_mul_f32 v[226:227], v[132:133], s[16:17] op_sel_hi:[1,0]
	v_mov_b32_e32 v145, v149
	v_mov_b32_e32 v149, v153
	;; [unrolled: 1-line block ×4, first 2 shown]
	v_pk_fma_f32 v[228:229], v[130:131], s[54:55], v[226:227] op_sel:[0,0,1] op_sel_hi:[1,0,0]
	v_pk_fma_f32 v[226:227], v[130:131], s[54:55], v[226:227] op_sel:[0,0,1] op_sel_hi:[1,0,0] neg_lo:[0,0,1] neg_hi:[0,0,1]
	v_pk_mul_f32 v[232:233], v[128:129], s[58:59] op_sel_hi:[1,0]
	v_pk_add_f32 v[148:149], v[48:49], v[148:149]
	v_mov_b32_e32 v230, v228
	v_mov_b32_e32 v231, v227
	v_pk_fma_f32 v[234:235], v[122:123], s[52:53], v[232:233] op_sel:[0,0,1] op_sel_hi:[1,0,0]
	v_pk_fma_f32 v[232:233], v[122:123], s[52:53], v[232:233] op_sel:[0,0,1] op_sel_hi:[1,0,0] neg_lo:[0,0,1] neg_hi:[0,0,1]
	v_pk_mul_f32 v[242:243], v[120:121], s[44:45] op_sel_hi:[1,0]
	v_pk_add_f32 v[90:91], v[90:91], v[148:149]
	v_mov_b32_e32 v236, v234
	v_mov_b32_e32 v237, v233
	v_pk_fma_f32 v[244:245], v[118:119], s[22:23], v[242:243] op_sel:[0,0,1] op_sel_hi:[1,0,0]
	v_pk_fma_f32 v[242:243], v[118:119], s[22:23], v[242:243] op_sel:[0,0,1] op_sel_hi:[1,0,0] neg_lo:[0,0,1] neg_hi:[0,0,1]
	v_pk_add_f32 v[90:91], v[230:231], v[90:91]
	v_mov_b32_e32 v246, v244
	v_mov_b32_e32 v247, v243
	v_pk_fma_f32 v[250:251], v[110:111], s[20:21], v[248:249] op_sel:[0,0,1] op_sel_hi:[1,0,0]
	v_pk_fma_f32 v[248:249], v[110:111], s[20:21], v[248:249] op_sel:[0,0,1] op_sel_hi:[1,0,0] neg_lo:[0,0,1] neg_hi:[0,0,1]
	v_pk_mul_f32 v[254:255], v[108:109], s[40:41] op_sel_hi:[1,0]
	s_mov_b32 s58, s25
	v_pk_add_f32 v[90:91], v[236:237], v[90:91]
	v_mov_b32_e32 v252, v250
	v_mov_b32_e32 v253, v249
	v_pk_fma_f32 v[238:239], v[106:107], s[6:7], v[254:255] op_sel:[0,0,1] op_sel_hi:[1,0,0]
	v_pk_fma_f32 v[254:255], v[106:107], s[6:7], v[254:255] op_sel:[0,0,1] op_sel_hi:[1,0,0] neg_lo:[0,0,1] neg_hi:[0,0,1]
	v_pk_mul_f32 v[240:241], v[104:105], s[58:59] op_sel_hi:[1,0]
	v_pk_add_f32 v[90:91], v[246:247], v[90:91]
	v_mov_b32_e32 v92, v238
	v_mov_b32_e32 v93, v255
	v_pk_fma_f32 v[134:135], v[100:101], s[24:25], v[240:241] op_sel:[0,0,1] op_sel_hi:[1,0,0]
	v_pk_fma_f32 v[240:241], v[100:101], s[24:25], v[240:241] op_sel:[0,0,1] op_sel_hi:[1,0,0] neg_lo:[0,0,1] neg_hi:[0,0,1]
	v_pk_add_f32 v[90:91], v[252:253], v[90:91]
	v_mov_b32_e32 v124, v134
	v_mov_b32_e32 v125, v241
	v_pk_add_f32 v[90:91], v[92:93], v[90:91]
	v_mov_b32_e32 v65, v95
	v_pk_add_f32 v[94:95], v[124:125], v[90:91]
	v_pk_mul_f32 v[90:91], v[224:225], s[20:21]
	s_mov_b32 s23, s34
	v_pk_add_f32 v[144:145], v[48:49], v[144:145]
	v_mov_b32_e32 v241, v135
	v_pk_fma_f32 v[92:93], v[84:85], s[46:47], v[90:91] neg_lo:[1,0,0] neg_hi:[1,0,0]
	v_pk_fma_f32 v[124:125], v[84:85], s[46:47], v[90:91]
	s_mov_b32 s35, s22
	v_pk_mul_f32 v[134:135], v[96:97], s[22:23]
	v_pk_add_f32 v[64:65], v[64:65], v[144:145]
	v_mov_b32_e32 v93, v125
	v_pk_fma_f32 v[86:87], v[86:87], s[34:35], v[134:135] op_sel:[1,0,0] neg_lo:[1,0,0] neg_hi:[1,0,0]
	v_pk_fma_f32 v[144:145], v[140:141], s[34:35], v[134:135]
	v_pk_add_f32 v[92:93], v[48:49], v[92:93]
	v_mov_b32_e32 v87, v145
	v_pk_add_f32 v[86:87], v[86:87], v[92:93]
	v_pk_mul_f32 v[92:93], v[132:133], s[28:29] op_sel_hi:[1,0]
	v_mov_b32_e32 v227, v229
	v_pk_fma_f32 v[148:149], v[130:131], s[26:27], v[92:93] op_sel:[0,0,1] op_sel_hi:[1,0,0] neg_lo:[0,0,1] neg_hi:[0,0,1]
	v_pk_fma_f32 v[92:93], v[130:131], s[26:27], v[92:93] op_sel:[0,0,1] op_sel_hi:[1,0,0]
	v_mov_b32_e32 v152, v148
	v_mov_b32_e32 v153, v93
	v_pk_add_f32 v[86:87], v[152:153], v[86:87]
	v_pk_mul_f32 v[152:153], v[128:129], s[40:41] op_sel_hi:[1,0]
	v_pk_add_f32 v[64:65], v[226:227], v[64:65]
	v_pk_fma_f32 v[226:227], v[122:123], s[6:7], v[152:153] op_sel:[0,0,1] op_sel_hi:[1,0,0] neg_lo:[0,0,1] neg_hi:[0,0,1]
	v_pk_fma_f32 v[152:153], v[122:123], s[6:7], v[152:153] op_sel:[0,0,1] op_sel_hi:[1,0,0]
	v_mov_b32_e32 v228, v226
	v_mov_b32_e32 v229, v153
	v_pk_add_f32 v[86:87], v[228:229], v[86:87]
	v_pk_mul_f32 v[228:229], v[120:121], s[42:43] op_sel_hi:[1,0]
	v_mov_b32_e32 v233, v235
	v_pk_fma_f32 v[230:231], v[118:119], s[52:53], v[228:229] op_sel:[0,0,1] op_sel_hi:[1,0,0] neg_lo:[0,0,1] neg_hi:[0,0,1]
	v_pk_fma_f32 v[228:229], v[118:119], s[52:53], v[228:229] op_sel:[0,0,1] op_sel_hi:[1,0,0]
	v_pk_add_f32 v[64:65], v[232:233], v[64:65]
	v_mov_b32_e32 v232, v230
	v_mov_b32_e32 v233, v229
	v_pk_add_f32 v[86:87], v[232:233], v[86:87]
	v_pk_mul_f32 v[232:233], v[116:117], s[48:49] op_sel_hi:[1,0]
	v_pk_fma_f32 v[84:85], v[84:85], s[46:47], v[90:91] neg_lo:[0,0,1] neg_hi:[0,0,1]
	v_mov_b32_e32 v243, v245
	v_pk_fma_f32 v[234:235], v[110:111], s[30:31], v[232:233] op_sel:[0,0,1] op_sel_hi:[1,0,0] neg_lo:[0,0,1] neg_hi:[0,0,1]
	v_pk_fma_f32 v[232:233], v[110:111], s[30:31], v[232:233] op_sel:[0,0,1] op_sel_hi:[1,0,0]
	v_mov_b32_e32 v125, v85
	v_pk_fma_f32 v[90:91], v[140:141], s[34:35], v[134:135] neg_lo:[0,0,1] neg_hi:[0,0,1]
	v_pk_add_f32 v[64:65], v[242:243], v[64:65]
	v_mov_b32_e32 v249, v251
	v_mov_b32_e32 v236, v234
	;; [unrolled: 1-line block ×3, first 2 shown]
	v_pk_add_f32 v[84:85], v[48:49], v[124:125]
	v_mov_b32_e32 v145, v91
	v_pk_add_f32 v[64:65], v[248:249], v[64:65]
	v_mov_b32_e32 v255, v239
	v_pk_add_f32 v[86:87], v[236:237], v[86:87]
	v_pk_mul_f32 v[236:237], v[108:109], s[58:59] op_sel_hi:[1,0]
	v_pk_add_f32 v[84:85], v[144:145], v[84:85]
	v_mov_b32_e32 v93, v149
	v_pk_add_f32 v[64:65], v[254:255], v[64:65]
	v_pk_fma_f32 v[238:239], v[106:107], s[24:25], v[236:237] op_sel:[0,0,1] op_sel_hi:[1,0,0] neg_lo:[0,0,1] neg_hi:[0,0,1]
	v_pk_fma_f32 v[236:237], v[106:107], s[24:25], v[236:237] op_sel:[0,0,1] op_sel_hi:[1,0,0]
	v_pk_add_f32 v[84:85], v[92:93], v[84:85]
	v_mov_b32_e32 v153, v227
	v_pk_add_f32 v[64:65], v[240:241], v[64:65]
	v_mov_b32_e32 v240, v238
	v_mov_b32_e32 v241, v237
	v_pk_add_f32 v[84:85], v[152:153], v[84:85]
	v_mov_b32_e32 v229, v231
	v_pk_add_f32 v[86:87], v[240:241], v[86:87]
	v_pk_mul_f32 v[240:241], v[104:105], s[56:57] op_sel_hi:[1,0]
	v_pk_add_f32 v[84:85], v[228:229], v[84:85]
	v_mov_b32_e32 v233, v235
	v_pk_add_f32 v[84:85], v[232:233], v[84:85]
	v_mov_b32_e32 v237, v239
	v_pk_fma_f32 v[90:91], v[100:101], s[54:55], v[240:241] op_sel:[0,0,1] op_sel_hi:[1,0,0]
	v_pk_fma_f32 v[92:93], v[100:101], s[54:55], v[240:241] op_sel:[0,0,1] op_sel_hi:[1,0,0] neg_lo:[0,0,1] neg_hi:[0,0,1]
	v_pk_add_f32 v[84:85], v[236:237], v[84:85]
	v_mov_b32_e32 v124, v90
	v_mov_b32_e32 v125, v93
	;; [unrolled: 1-line block ×3, first 2 shown]
	v_pk_add_f32 v[84:85], v[124:125], v[84:85]
	v_pk_add_f32 v[86:87], v[92:93], v[86:87]
	s_barrier
	s_and_saveexec_b64 s[46:47], s[4:5]
	s_cbranch_execz .LBB0_17
; %bb.16:
	v_pk_add_f32 v[50:51], v[50:51], v[48:49]
	v_pk_mul_f32 v[90:91], v[96:97], s[26:27]
	v_pk_add_f32 v[50:51], v[68:69], v[50:51]
	v_accvgpr_write_b32 a20, v90
	v_pk_add_f32 v[50:51], v[70:71], v[50:51]
	v_accvgpr_write_b32 a21, v91
	v_pk_add_f32 v[50:51], v[76:77], v[50:51]
	v_pk_mul_f32 v[90:91], v[96:97], s[38:39]
	v_pk_add_f32 v[50:51], v[78:79], v[50:51]
	v_pk_mul_f32 v[92:93], v[142:143], s[44:45] op_sel_hi:[1,0]
	v_pk_add_f32 v[50:51], v[80:81], v[50:51]
	s_mov_b32 s51, s6
	v_pk_add_f32 v[50:51], v[82:83], v[50:51]
	v_accvgpr_write_b32 a18, v90
	v_pk_add_f32 v[50:51], v[72:73], v[50:51]
	v_pk_fma_f32 v[144:145], v[138:139], s[22:23], v[92:93] op_sel:[0,0,1] op_sel_hi:[1,0,0]
	v_pk_add_f32 v[50:51], v[74:75], v[50:51]
	s_mov_b32 s7, s50
	v_pk_add_f32 v[50:51], v[52:53], v[50:51]
	v_pk_mul_f32 v[52:53], v[140:141], s[50:51]
	v_pk_add_f32 v[50:51], v[54:55], v[50:51]
	v_accvgpr_write_b32 a19, v91
	v_pk_add_f32 v[50:51], v[56:57], v[50:51]
	v_pk_fma_f32 v[90:91], v[96:97], s[6:7], v[52:53]
	v_pk_add_f32 v[50:51], v[58:59], v[50:51]
	v_pk_fma_f32 v[56:57], v[96:97], s[6:7], v[52:53] neg_lo:[1,0,0] neg_hi:[1,0,0]
	v_pk_add_f32 v[0:1], v[0:1], v[50:51]
	v_mov_b32_e32 v50, v144
	v_pk_add_f32 v[0:1], v[2:3], v[0:1]
	v_pk_fma_f32 v[2:3], v[138:139], s[22:23], v[92:93] op_sel:[0,0,1] op_sel_hi:[1,0,0] neg_lo:[0,0,1] neg_hi:[0,0,1]
	v_mov_b32_e32 v56, v90
	v_mov_b32_e32 v51, v3
	v_pk_add_f32 v[54:55], v[48:49], v[50:51]
	v_accvgpr_read_b32 v68, a5
	v_pk_add_f32 v[58:59], v[56:57], v[54:55]
	v_pk_mul_f32 v[56:57], v[132:133], s[36:37] op_sel_hi:[1,0]
	v_lshlrev_b32_e32 v89, 3, v68
	v_pk_fma_f32 v[54:55], v[130:131], s[30:31], v[56:57] op_sel:[0,0,1] op_sel_hi:[1,0,0]
	v_pk_fma_f32 v[56:57], v[130:131], s[30:31], v[56:57] op_sel:[0,0,1] op_sel_hi:[1,0,0] neg_lo:[0,0,1] neg_hi:[0,0,1]
	v_mov_b32_e32 v68, v54
	v_mov_b32_e32 v69, v57
	v_pk_add_f32 v[70:71], v[68:69], v[58:59]
	s_mov_b32 s38, s17
	v_pk_mul_f32 v[68:69], v[128:129], s[16:17] op_sel_hi:[1,0]
	s_mov_b32 s52, s25
	v_pk_fma_f32 v[58:59], v[122:123], s[38:39], v[68:69] op_sel:[0,0,1] op_sel_hi:[1,0,0]
	v_pk_fma_f32 v[68:69], v[122:123], s[38:39], v[68:69] op_sel:[0,0,1] op_sel_hi:[1,0,0] neg_lo:[0,0,1] neg_hi:[0,0,1]
	v_mov_b32_e32 v72, v58
	v_mov_b32_e32 v73, v69
	v_pk_add_f32 v[74:75], v[72:73], v[70:71]
	v_pk_mul_f32 v[72:73], v[120:121], s[52:53] op_sel_hi:[1,0]
	s_mov_b32 s52, s43
	v_pk_fma_f32 v[70:71], v[118:119], s[24:25], v[72:73] op_sel:[0,0,1] op_sel_hi:[1,0,0]
	v_pk_fma_f32 v[72:73], v[118:119], s[24:25], v[72:73] op_sel:[0,0,1] op_sel_hi:[1,0,0] neg_lo:[0,0,1] neg_hi:[0,0,1]
	v_mov_b32_e32 v76, v70
	v_mov_b32_e32 v77, v73
	v_pk_add_f32 v[78:79], v[76:77], v[74:75]
	;; [unrolled: 7-line block ×3, first 2 shown]
	v_pk_mul_f32 v[80:81], v[108:109], s[28:29] op_sel_hi:[1,0]
	v_pk_add_f32 v[152:153], v[156:157], v[0:1]
	v_pk_fma_f32 v[78:79], v[106:107], s[26:27], v[80:81] op_sel:[0,0,1] op_sel_hi:[1,0,0]
	v_pk_fma_f32 v[80:81], v[106:107], s[26:27], v[80:81] op_sel:[0,0,1] op_sel_hi:[1,0,0] neg_lo:[0,0,1] neg_hi:[0,0,1]
	v_mov_b32_e32 v92, v78
	v_mov_b32_e32 v93, v81
	v_pk_add_f32 v[226:227], v[92:93], v[82:83]
	v_pk_mul_f32 v[92:93], v[104:105], s[54:55] op_sel_hi:[1,0]
	v_pk_mul_f32 v[232:233], v[140:141], s[16:17]
	v_pk_fma_f32 v[82:83], v[100:101], s[20:21], v[92:93] op_sel:[0,0,1] op_sel_hi:[1,0,0]
	v_pk_fma_f32 v[92:93], v[100:101], s[20:21], v[92:93] op_sel:[0,0,1] op_sel_hi:[1,0,0] neg_lo:[0,0,1] neg_hi:[0,0,1]
	v_mov_b32_e32 v228, v82
	v_mov_b32_e32 v229, v93
	v_pk_add_f32 v[226:227], v[228:229], v[226:227]
	ds_write2_b64 v89, v[152:153], v[226:227] offset1:1
	v_pk_mul_f32 v[152:153], v[142:143], s[50:51] op_sel_hi:[1,0]
	v_pk_fma_f32 v[230:231], v[96:97], s[0:1], v[232:233]
	v_pk_fma_f32 v[226:227], v[138:139], s[6:7], v[152:153] op_sel:[0,0,1] op_sel_hi:[1,0,0]
	v_pk_fma_f32 v[228:229], v[138:139], s[6:7], v[152:153] op_sel:[0,0,1] op_sel_hi:[1,0,0] neg_lo:[0,0,1] neg_hi:[0,0,1]
	v_mov_b32_e32 v152, v226
	v_mov_b32_e32 v153, v229
	v_pk_fma_f32 v[234:235], v[96:97], s[0:1], v[232:233] neg_lo:[1,0,0] neg_hi:[1,0,0]
	v_pk_add_f32 v[152:153], v[48:49], v[152:153]
	v_mov_b32_e32 v234, v230
	v_pk_mul_f32 v[236:237], v[132:133], s[42:43] op_sel_hi:[1,0]
	v_pk_add_f32 v[152:153], v[234:235], v[152:153]
	v_pk_fma_f32 v[234:235], v[130:131], s[52:53], v[236:237] op_sel:[0,0,1] op_sel_hi:[1,0,0]
	v_pk_fma_f32 v[236:237], v[130:131], s[52:53], v[236:237] op_sel:[0,0,1] op_sel_hi:[1,0,0] neg_lo:[0,0,1] neg_hi:[0,0,1]
	v_mov_b32_e32 v238, v234
	v_mov_b32_e32 v239, v237
	v_pk_add_f32 v[152:153], v[238:239], v[152:153]
	v_pk_mul_f32 v[238:239], v[128:129], s[54:55] op_sel_hi:[1,0]
	s_mov_b32 s50, s27
	v_pk_fma_f32 v[240:241], v[122:123], s[20:21], v[238:239] op_sel:[0,0,1] op_sel_hi:[1,0,0]
	v_pk_fma_f32 v[238:239], v[122:123], s[20:21], v[238:239] op_sel:[0,0,1] op_sel_hi:[1,0,0] neg_lo:[0,0,1] neg_hi:[0,0,1]
	v_mov_b32_e32 v242, v240
	v_mov_b32_e32 v243, v239
	v_pk_add_f32 v[152:153], v[242:243], v[152:153]
	v_pk_mul_f32 v[242:243], v[120:121], s[50:51] op_sel_hi:[1,0]
	s_mov_b32 s50, s39
	v_pk_fma_f32 v[244:245], v[118:119], s[26:27], v[242:243] op_sel:[0,0,1] op_sel_hi:[1,0,0]
	v_pk_fma_f32 v[242:243], v[118:119], s[26:27], v[242:243] op_sel:[0,0,1] op_sel_hi:[1,0,0] neg_lo:[0,0,1] neg_hi:[0,0,1]
	v_mov_b32_e32 v246, v244
	v_mov_b32_e32 v247, v243
	v_pk_add_f32 v[152:153], v[246:247], v[152:153]
	v_pk_mul_f32 v[246:247], v[116:117], s[50:51] op_sel_hi:[1,0]
	v_pk_mul_f32 v[142:143], v[142:143], s[36:37] op_sel_hi:[1,0]
	v_pk_fma_f32 v[248:249], v[110:111], s[24:25], v[246:247] op_sel:[0,0,1] op_sel_hi:[1,0,0]
	v_pk_fma_f32 v[246:247], v[110:111], s[24:25], v[246:247] op_sel:[0,0,1] op_sel_hi:[1,0,0] neg_lo:[0,0,1] neg_hi:[0,0,1]
	v_mov_b32_e32 v250, v248
	v_mov_b32_e32 v251, v247
	v_pk_add_f32 v[152:153], v[250:251], v[152:153]
	v_pk_mul_f32 v[250:251], v[108:109], s[48:49] op_sel_hi:[1,0]
	v_pk_mul_f32 v[140:141], v[140:141], s[42:43]
	v_pk_fma_f32 v[252:253], v[106:107], s[30:31], v[250:251] op_sel:[0,0,1] op_sel_hi:[1,0,0]
	v_pk_fma_f32 v[250:251], v[106:107], s[30:31], v[250:251] op_sel:[0,0,1] op_sel_hi:[1,0,0] neg_lo:[0,0,1] neg_hi:[0,0,1]
	v_mov_b32_e32 v254, v252
	v_mov_b32_e32 v255, v251
	v_pk_add_f32 v[152:153], v[254:255], v[152:153]
	v_pk_mul_f32 v[254:255], v[104:105], s[34:35] op_sel_hi:[1,0]
	v_mov_b32_e32 v127, v169
	v_pk_fma_f32 v[50:51], v[100:101], s[22:23], v[254:255] op_sel:[0,0,1] op_sel_hi:[1,0,0]
	v_pk_fma_f32 v[254:255], v[100:101], s[22:23], v[254:255] op_sel:[0,0,1] op_sel_hi:[1,0,0] neg_lo:[0,0,1] neg_hi:[0,0,1]
	v_mov_b32_e32 v0, v50
	v_mov_b32_e32 v1, v255
	v_pk_add_f32 v[0:1], v[0:1], v[152:153]
	v_pk_fma_f32 v[152:153], v[138:139], s[30:31], v[142:143] op_sel:[0,0,1] op_sel_hi:[1,0,0]
	v_pk_fma_f32 v[138:139], v[138:139], s[30:31], v[142:143] op_sel:[0,0,1] op_sel_hi:[1,0,0] neg_lo:[0,0,1] neg_hi:[0,0,1]
	v_mov_b32_e32 v142, v152
	v_mov_b32_e32 v143, v139
	v_pk_fma_f32 v[168:169], v[96:97], s[18:19], v[140:141]
	v_pk_fma_f32 v[156:157], v[96:97], s[18:19], v[140:141] neg_lo:[1,0,0] neg_hi:[1,0,0]
	s_mov_b32 s30, 0x3e3c28d5
	v_pk_add_f32 v[142:143], v[48:49], v[142:143]
	v_mov_b32_e32 v156, v168
	v_pk_mul_f32 v[132:133], v[132:133], s[30:31] op_sel_hi:[1,0]
	v_pk_add_f32 v[142:143], v[156:157], v[142:143]
	v_pk_fma_f32 v[156:157], v[130:131], s[20:21], v[132:133] op_sel:[0,0,1] op_sel_hi:[1,0,0]
	v_pk_fma_f32 v[130:131], v[130:131], s[20:21], v[132:133] op_sel:[0,0,1] op_sel_hi:[1,0,0] neg_lo:[0,0,1] neg_hi:[0,0,1]
	v_mov_b32_e32 v132, v156
	v_mov_b32_e32 v133, v131
	v_pk_mul_f32 v[128:129], v[128:129], s[50:51] op_sel_hi:[1,0]
	v_pk_add_f32 v[132:133], v[132:133], v[142:143]
	v_pk_fma_f32 v[142:143], v[122:123], s[24:25], v[128:129] op_sel:[0,0,1] op_sel_hi:[1,0,0]
	v_pk_fma_f32 v[122:123], v[122:123], s[24:25], v[128:129] op_sel:[0,0,1] op_sel_hi:[1,0,0] neg_lo:[0,0,1] neg_hi:[0,0,1]
	v_mov_b32_e32 v128, v142
	;; [unrolled: 6-line block ×6, first 2 shown]
	v_mov_b32_e32 v105, v101
	v_pk_mul_f32 v[124:125], v[224:225], s[0:1]
	v_pk_add_f32 v[104:105], v[104:105], v[108:109]
	ds_write2_b64 v89, v[0:1], v[104:105] offset0:2 offset1:3
	v_pk_add_f32 v[0:1], v[98:99], v[124:125] neg_lo:[0,1] neg_hi:[0,1]
	v_pk_mul_f32 v[134:135], v[96:97], s[20:21]
	v_mov_b32_e32 v103, v1
	v_pk_mul_f32 v[148:149], v[224:225], s[24:25]
	v_pk_add_f32 v[0:1], v[48:49], v[102:103]
	v_pk_add_f32 v[98:99], v[112:113], v[134:135] neg_lo:[0,1] neg_hi:[0,1]
	v_accvgpr_read_b32 v103, a21
	v_mov_b32_e32 v115, v99
	v_pk_add_f32 v[98:99], v[160:161], v[148:149] neg_lo:[0,1] neg_hi:[0,1]
	v_accvgpr_read_b32 v102, a20
	v_mov_b32_e32 v163, v99
	v_pk_add_f32 v[102:103], v[164:165], v[102:103] neg_lo:[0,1] neg_hi:[0,1]
	v_pk_add_f32 v[98:99], v[48:49], v[162:163]
	v_mov_b32_e32 v167, v103
	v_pk_add_f32 v[0:1], v[114:115], v[0:1]
	v_pk_add_f32 v[98:99], v[166:167], v[98:99]
	v_accvgpr_read_b32 v171, a17
	v_pk_add_f32 v[0:1], v[126:127], v[0:1]
	v_accvgpr_read_b32 v137, a7
	v_pk_add_f32 v[98:99], v[170:171], v[98:99]
	v_mov_b32_e32 v175, v173
	v_pk_add_f32 v[0:1], v[136:137], v[0:1]
	v_accvgpr_read_b32 v147, a9
	v_pk_add_f32 v[98:99], v[174:175], v[98:99]
	v_mov_b32_e32 v179, v177
	;; [unrolled: 4-line block ×5, first 2 shown]
	v_pk_add_f32 v[0:1], v[158:159], v[0:1]
	v_pk_add_f32 v[98:99], v[194:195], v[98:99]
	v_pk_mul_f32 v[224:225], v[224:225], s[18:19]
	ds_write2_b64 v89, v[0:1], v[98:99] offset0:4 offset1:5
	v_accvgpr_read_b32 v99, a19
	v_pk_add_f32 v[0:1], v[188:189], v[224:225] neg_lo:[0,1] neg_hi:[0,1]
	v_accvgpr_read_b32 v98, a18
	v_mov_b32_e32 v191, v1
	v_pk_add_f32 v[98:99], v[196:197], v[98:99] neg_lo:[0,1] neg_hi:[0,1]
	v_pk_add_f32 v[0:1], v[48:49], v[190:191]
	v_mov_b32_e32 v199, v99
	v_pk_add_f32 v[0:1], v[198:199], v[0:1]
	v_mov_b32_e32 v201, v203
	;; [unrolled: 2-line block ×8, first 2 shown]
	v_pk_fma_f32 v[98:99], v[96:97], s[18:19], v[140:141] neg_lo:[0,0,1] neg_hi:[0,0,1]
	ds_write2_b64 v89, v[0:1], v[94:95] offset0:6 offset1:7
	ds_write2_b64 v89, v[84:85], v[86:87] offset0:8 offset1:9
	;; [unrolled: 1-line block ×4, first 2 shown]
	v_pk_add_f32 v[0:1], v[48:49], v[138:139]
	v_mov_b32_e32 v99, v169
	v_pk_add_f32 v[0:1], v[98:99], v[0:1]
	v_mov_b32_e32 v131, v157
	;; [unrolled: 2-line block ×8, first 2 shown]
	v_pk_fma_f32 v[100:101], v[96:97], s[0:1], v[232:233] neg_lo:[0,0,1] neg_hi:[0,0,1]
	v_pk_add_f32 v[98:99], v[48:49], v[228:229]
	v_mov_b32_e32 v101, v231
	v_pk_add_f32 v[98:99], v[100:101], v[98:99]
	v_mov_b32_e32 v237, v235
	;; [unrolled: 2-line block ×8, first 2 shown]
	ds_write2_b64 v89, v[0:1], v[50:51] offset0:14 offset1:15
	v_pk_add_f32 v[0:1], v[48:49], v[2:3]
	v_pk_fma_f32 v[2:3], v[96:97], s[6:7], v[52:53] neg_lo:[0,0,1] neg_hi:[0,0,1]
	v_mov_b32_e32 v57, v55
	v_mov_b32_e32 v3, v91
	v_pk_add_f32 v[0:1], v[2:3], v[0:1]
	v_mov_b32_e32 v69, v59
	v_pk_add_f32 v[0:1], v[56:57], v[0:1]
	;; [unrolled: 2-line block ×6, first 2 shown]
	s_nop 0
	v_pk_add_f32 v[0:1], v[92:93], v[0:1]
	ds_write_b64 v89, v[0:1] offset:128
.LBB0_17:
	s_or_b64 exec, exec, s[46:47]
	v_add_u32_e32 v48, 0xa00, v88
	s_waitcnt lgkmcnt(0)
	s_barrier
	ds_read2_b64 v[52:55], v48 offset0:54 offset1:241
	v_add_u32_e32 v48, 0x1600, v88
	ds_read2_b64 v[0:3], v88 offset1:187
	ds_read2_b64 v[48:51], v48 offset0:44 offset1:231
	ds_read_b64 v[82:83], v88 offset:8976
	s_mov_b64 s[0:1], exec
	s_and_b64 s[6:7], s[0:1], s[2:3]
	v_accvgpr_read_b32 v89, a1
	s_mov_b64 exec, s[6:7]
	s_cbranch_execz .LBB0_19
; %bb.18:
	v_add_u32_e32 v56, 0x800, v88
	ds_read2_b64 v[84:87], v56 offset0:50 offset1:237
	v_add_u32_e32 v56, 0x1400, v88
	ds_read2_b64 v[64:67], v56 offset0:40 offset1:227
	v_add_u32_e32 v56, 0x2000, v88
	ds_read_b64 v[94:95], v88 offset:952
	ds_read2_b64 v[60:63], v56 offset0:30 offset1:217
.LBB0_19:
	s_or_b64 exec, exec, s[0:1]
	s_waitcnt lgkmcnt(3)
	v_pk_mul_f32 v[104:105], v[20:21], v[54:55] op_sel:[0,1] op_sel_hi:[1,0]
	s_waitcnt lgkmcnt(2)
	v_pk_mul_f32 v[90:91], v[16:17], v[2:3] op_sel_hi:[1,0]
	v_mov_b32_e32 v92, v3
	v_mov_b32_e32 v104, v105
	s_waitcnt lgkmcnt(1)
	v_pk_mul_f32 v[106:107], v[22:23], v[48:49] op_sel:[0,1] op_sel_hi:[1,0]
	v_pk_mul_f32 v[96:97], v[18:19], v[52:53] op_sel_hi:[1,0]
	v_mov_b32_e32 v98, v53
	v_pk_mul_f32 v[100:101], v[20:21], v[54:55]
	v_mov_b32_e32 v102, v21
	v_pk_fma_f32 v[20:21], v[20:21], v[54:55], v[104:105] op_sel:[0,1,0] op_sel_hi:[1,0,1] neg_lo:[0,0,1] neg_hi:[0,0,1]
	v_mov_b32_e32 v104, v23
	v_mov_b32_e32 v106, v107
	v_pk_fma_f32 v[92:93], v[16:17], v[92:93], v[90:91] op_sel:[0,0,1] op_sel_hi:[1,1,0] neg_lo:[0,0,1] neg_hi:[0,0,1]
	v_pk_fma_f32 v[2:3], v[16:17], v[2:3], v[90:91] op_sel:[0,1,1] op_sel_hi:[1,1,0]
	v_pk_mul_f32 v[102:103], v[102:103], v[54:55] op_sel:[0,1] op_sel_hi:[1,0]
	v_pk_mul_f32 v[54:55], v[22:23], v[48:49]
	v_pk_mul_f32 v[104:105], v[104:105], v[48:49] op_sel:[0,1] op_sel_hi:[1,0]
	v_pk_fma_f32 v[22:23], v[22:23], v[48:49], v[106:107] op_sel:[0,1,0] op_sel_hi:[1,0,1] neg_lo:[0,0,1] neg_hi:[0,0,1]
	v_pk_mul_f32 v[48:49], v[24:25], v[50:51] op_sel_hi:[1,0]
	v_mov_b32_e32 v106, v51
	v_mov_b32_e32 v93, v3
	v_pk_fma_f32 v[2:3], v[18:19], v[98:99], v[96:97] op_sel:[0,0,1] op_sel_hi:[1,1,0] neg_lo:[0,0,1] neg_hi:[0,0,1]
	v_pk_fma_f32 v[16:17], v[18:19], v[52:53], v[96:97] op_sel:[0,1,1] op_sel_hi:[1,1,0]
	s_waitcnt lgkmcnt(0)
	v_pk_mul_f32 v[108:109], v[26:27], v[82:83] op_sel_hi:[1,0]
	v_mov_b32_e32 v110, v83
	v_mov_b32_e32 v3, v17
	v_pk_fma_f32 v[16:17], v[24:25], v[106:107], v[48:49] op_sel:[0,0,1] op_sel_hi:[1,1,0] neg_lo:[0,0,1] neg_hi:[0,0,1]
	v_pk_fma_f32 v[18:19], v[24:25], v[50:51], v[48:49] op_sel:[0,1,1] op_sel_hi:[1,1,0]
	v_pk_fma_f32 v[24:25], v[26:27], v[82:83], v[108:109] op_sel:[0,1,1] op_sel_hi:[1,1,0]
	v_mov_b32_e32 v17, v19
	v_pk_fma_f32 v[18:19], v[26:27], v[110:111], v[108:109] op_sel:[0,0,1] op_sel_hi:[1,1,0] neg_lo:[0,0,1] neg_hi:[0,0,1]
	v_mov_b32_e32 v55, v92
	v_mov_b32_e32 v19, v25
	;; [unrolled: 1-line block ×5, first 2 shown]
	v_pk_add_f32 v[24:25], v[92:93], v[18:19]
	v_pk_add_f32 v[26:27], v[92:93], v[18:19] neg_lo:[0,1] neg_hi:[0,1]
	v_pk_add_f32 v[48:49], v[2:3], v[16:17]
	v_pk_add_f32 v[50:51], v[2:3], v[16:17] neg_lo:[0,1] neg_hi:[0,1]
	v_pk_add_f32 v[18:19], v[54:55], v[104:105]
	v_pk_add_f32 v[2:3], v[100:101], v[102:103]
	v_mov_b32_e32 v23, v18
	v_mov_b32_e32 v21, v2
	v_pk_add_f32 v[16:17], v[22:23], v[20:21] neg_lo:[0,1] neg_hi:[0,1]
	v_mov_b32_e32 v90, v49
	v_mov_b32_e32 v91, v20
	;; [unrolled: 1-line block ×4, first 2 shown]
	v_pk_add_f32 v[20:21], v[90:91], v[20:21]
	v_pk_add_f32 v[22:23], v[2:3], v[18:19]
	v_mov_b32_e32 v52, v16
	v_mov_b32_e32 v53, v27
	;; [unrolled: 1-line block ×4, first 2 shown]
	s_mov_b32 s6, 0x3f08b237
	v_mov_b32_e32 v18, v22
	v_mov_b32_e32 v91, v21
	s_mov_b32 s24, 0x3d64c772
	v_pk_add_f32 v[52:53], v[52:53], v[54:55] neg_lo:[0,1] neg_hi:[0,1]
	s_mov_b32 s7, 0xbeae86e6
	v_mov_b32_e32 v54, v26
	v_mov_b32_e32 v82, v16
	;; [unrolled: 1-line block ×3, first 2 shown]
	v_pk_add_f32 v[90:91], v[18:19], v[90:91] neg_lo:[0,1] neg_hi:[0,1]
	v_mov_b32_e32 v92, v25
	v_mov_b32_e32 v93, v21
	;; [unrolled: 1-line block ×3, first 2 shown]
	v_pk_add_f32 v[20:21], v[20:21], v[22:23]
	s_mov_b32 s25, 0x3f4a47b2
	v_pk_mul_f32 v[52:53], v[52:53], s[6:7]
	v_pk_add_f32 v[54:55], v[54:55], v[82:83] neg_lo:[0,1] neg_hi:[0,1]
	s_mov_b32 s20, s7
	s_mov_b32 s21, s6
	v_pk_add_f32 v[16:17], v[16:17], v[50:51]
	v_pk_add_f32 v[92:93], v[92:93], v[2:3] neg_lo:[0,1] neg_hi:[0,1]
	v_pk_add_f32 v[0:1], v[0:1], v[20:21]
	s_mov_b32 s22, 0xbf955555
	v_pk_mul_f32 v[22:23], v[90:91], s[24:25]
	s_mov_b32 s26, s25
	s_mov_b32 s27, s24
	v_pk_mul_f32 v[82:83], v[54:55], s[20:21]
	v_pk_add_f32 v[16:17], v[16:17], v[26:27]
	s_mov_b32 s0, 0xbee1c552
	v_pk_mul_f32 v[90:91], v[92:93], s[26:27]
	v_pk_fma_f32 v[20:21], v[20:21], s[22:23], v[0:1] op_sel_hi:[1,0,1]
	v_pk_fma_f32 v[92:93], v[92:93], s[26:27], v[22:23]
	v_pk_fma_f32 v[54:55], v[54:55], s[20:21], v[52:53]
	v_pk_add_f32 v[92:93], v[92:93], v[20:21]
	v_pk_fma_f32 v[54:55], v[16:17], s[0:1], v[54:55] op_sel_hi:[1,0,1]
	v_accvgpr_read_b32 v48, a4
	v_pk_add_f32 v[96:97], v[92:93], v[54:55]
	v_pk_add_f32 v[54:55], v[92:93], v[54:55] neg_lo:[0,1] neg_hi:[0,1]
	v_mov_b32_e32 v92, v96
	v_mov_b32_e32 v93, v55
	;; [unrolled: 1-line block ×4, first 2 shown]
	s_barrier
	ds_write2_b64 v48, v[0:1], v[92:93] offset1:17
	v_pk_add_f32 v[0:1], v[50:51], v[26:27] neg_lo:[0,1] neg_hi:[0,1]
	s_mov_b32 s16, 0xbf5ff5aa
	v_pk_add_f32 v[2:3], v[2:3], v[18:19] neg_lo:[0,1] neg_hi:[0,1]
	s_mov_b32 s18, 0x3f3bfb3b
	v_mov_b32_e32 v18, v90
	v_mov_b32_e32 v19, v23
	;; [unrolled: 1-line block ×6, first 2 shown]
	v_pk_fma_f32 v[18:19], v[2:3], s[18:19], v[18:19] op_sel_hi:[1,0,1] neg_lo:[1,0,1] neg_hi:[1,0,1]
	v_pk_fma_f32 v[24:25], v[0:1], s[16:17], v[24:25] op_sel_hi:[1,0,1] neg_lo:[1,0,1] neg_hi:[1,0,1]
	;; [unrolled: 1-line block ×4, first 2 shown]
	v_pk_add_f32 v[18:19], v[18:19], v[20:21]
	v_pk_fma_f32 v[24:25], v[16:17], s[0:1], v[24:25] op_sel_hi:[1,0,1]
	v_pk_add_f32 v[2:3], v[2:3], v[20:21]
	v_pk_fma_f32 v[0:1], v[16:17], s[0:1], v[0:1] op_sel_hi:[1,0,1]
	v_pk_add_f32 v[26:27], v[18:19], v[24:25]
	v_pk_add_f32 v[18:19], v[18:19], v[24:25] neg_lo:[0,1] neg_hi:[0,1]
	v_pk_add_f32 v[16:17], v[2:3], v[0:1] neg_lo:[0,1] neg_hi:[0,1]
	v_pk_add_f32 v[0:1], v[2:3], v[0:1]
	v_mov_b32_e32 v80, v30
	v_mov_b32_e32 v81, v30
	v_mov_b32_e32 v30, v31
	v_mov_b32_e32 v78, v44
	v_mov_b32_e32 v79, v44
	v_mov_b32_e32 v44, v45
	v_mov_b32_e32 v76, v46
	v_mov_b32_e32 v77, v46
	v_mov_b32_e32 v46, v47
	v_mov_b32_e32 v74, v40
	v_mov_b32_e32 v75, v40
	v_mov_b32_e32 v40, v41
	v_mov_b32_e32 v72, v42
	v_mov_b32_e32 v73, v42
	v_mov_b32_e32 v42, v43
	v_mov_b32_e32 v70, v32
	v_mov_b32_e32 v71, v32
	v_mov_b32_e32 v32, v33
	v_mov_b32_e32 v68, v34
	v_mov_b32_e32 v69, v34
	v_mov_b32_e32 v34, v35
	v_mov_b32_e32 v58, v36
	v_mov_b32_e32 v59, v36
	v_mov_b32_e32 v36, v37
	v_mov_b32_e32 v56, v38
	v_mov_b32_e32 v57, v38
	v_mov_b32_e32 v38, v39
	v_mov_b32_e32 v24, v26
	v_mov_b32_e32 v25, v19
	v_mov_b32_e32 v2, v16
	v_mov_b32_e32 v3, v1
	v_mov_b32_e32 v1, v17
	v_mov_b32_e32 v19, v27
	v_mov_b32_e32 v55, v97
	ds_write2_b64 v48, v[24:25], v[2:3] offset0:34 offset1:51
	ds_write2_b64 v48, v[0:1], v[18:19] offset0:68 offset1:85
	ds_write_b64 v48, v[54:55] offset:816
	s_and_saveexec_b64 s[28:29], s[2:3]
	s_cbranch_execz .LBB0_21
; %bb.20:
	v_mov_b32_e32 v0, v13
	v_mov_b32_e32 v1, v12
	v_pk_mul_f32 v[48:49], v[0:1], v[64:65]
	v_mov_b32_e32 v2, v15
	v_mov_b32_e32 v3, v14
	;; [unrolled: 1-line block ×4, first 2 shown]
	v_pk_mul_f32 v[22:23], v[0:1], v[22:23]
	v_pk_fma_f32 v[0:1], v[0:1], v[64:65], v[48:49] neg_lo:[1,0,0] neg_hi:[1,0,0]
	v_pk_mul_f32 v[48:49], v[2:3], v[66:67]
	v_pk_mul_f32 v[18:19], v[10:11], v[62:63] op_sel_hi:[1,0]
	v_mov_b32_e32 v20, v67
	v_mov_b32_e32 v48, v49
	v_pk_mul_f32 v[16:17], v[4:5], v[84:85] op_sel_hi:[1,0]
	v_pk_mul_f32 v[20:21], v[2:3], v[20:21]
	v_pk_fma_f32 v[2:3], v[2:3], v[66:67], v[48:49] neg_lo:[1,0,0] neg_hi:[1,0,0]
	v_pk_fma_f32 v[48:49], v[10:11], v[62:63], v[18:19] op_sel:[0,1,1] op_sel_hi:[1,1,0] neg_lo:[0,0,1] neg_hi:[0,0,1]
	v_pk_fma_f32 v[10:11], v[10:11], v[62:63], v[18:19] op_sel:[0,1,1] op_sel_hi:[1,1,0]
	v_pk_mul_f32 v[26:27], v[8:9], v[60:61] op_sel_hi:[1,0]
	v_mov_b32_e32 v49, v11
	v_pk_fma_f32 v[10:11], v[4:5], v[84:85], v[16:17] op_sel:[0,1,1] op_sel_hi:[1,1,0] neg_lo:[0,0,1] neg_hi:[0,0,1]
	v_pk_fma_f32 v[4:5], v[4:5], v[84:85], v[16:17] op_sel:[0,1,1] op_sel_hi:[1,1,0]
	v_pk_mul_f32 v[24:25], v[6:7], v[86:87] op_sel_hi:[1,0]
	v_mov_b32_e32 v11, v5
	v_pk_fma_f32 v[4:5], v[8:9], v[60:61], v[26:27] op_sel:[0,1,1] op_sel_hi:[1,1,0] neg_lo:[0,0,1] neg_hi:[0,0,1]
	v_pk_fma_f32 v[8:9], v[8:9], v[60:61], v[26:27] op_sel:[0,1,1] op_sel_hi:[1,1,0]
	v_pk_mul_f32 v[14:15], v[14:15], v[66:67]
	v_pk_mul_f32 v[12:13], v[12:13], v[64:65]
	v_mov_b32_e32 v5, v9
	v_pk_fma_f32 v[8:9], v[6:7], v[86:87], v[24:25] op_sel:[0,1,1] op_sel_hi:[1,1,0] neg_lo:[0,0,1] neg_hi:[0,0,1]
	v_pk_fma_f32 v[6:7], v[6:7], v[86:87], v[24:25] op_sel:[0,1,1] op_sel_hi:[1,1,0]
	v_accvgpr_read_b32 v1, a2
	v_mov_b32_e32 v9, v7
	v_mov_b32_e32 v15, v48
	;; [unrolled: 1-line block ×5, first 2 shown]
	v_mul_u32_u24_e32 v1, 0x77, v1
	v_accvgpr_read_b32 v3, a3
	v_pk_add_f32 v[6:7], v[48:49], v[10:11]
	v_pk_add_f32 v[16:17], v[4:5], v[8:9]
	v_pk_add_f32 v[18:19], v[10:11], v[48:49] neg_lo:[0,1] neg_hi:[0,1]
	v_pk_add_f32 v[24:25], v[8:9], v[4:5] neg_lo:[0,1] neg_hi:[0,1]
	v_pk_add_f32 v[10:11], v[14:15], v[20:21]
	v_pk_add_f32 v[4:5], v[12:13], v[22:23]
	v_add_lshl_u32 v52, v1, v3, 3
	v_mov_b32_e32 v3, v10
	v_mov_b32_e32 v1, v4
	v_pk_add_f32 v[8:9], v[2:3], v[0:1] neg_lo:[0,1] neg_hi:[0,1]
	v_mov_b32_e32 v23, v19
	v_mov_b32_e32 v14, v8
	v_pk_add_f32 v[20:21], v[8:9], v[24:25]
	v_mov_b32_e32 v22, v8
	v_mov_b32_e32 v8, v24
	;; [unrolled: 1-line block ×3, first 2 shown]
	v_pk_add_f32 v[8:9], v[22:23], v[8:9] neg_lo:[0,1] neg_hi:[0,1]
	v_mov_b32_e32 v22, v17
	v_mov_b32_e32 v23, v0
	v_mov_b32_e32 v0, v7
	v_mov_b32_e32 v1, v2
	v_pk_add_f32 v[0:1], v[22:23], v[0:1]
	v_pk_add_f32 v[2:3], v[4:5], v[10:11]
	v_mov_b32_e32 v12, v18
	v_pk_add_f32 v[22:23], v[0:1], v[2:3]
	v_mov_b32_e32 v0, v7
	v_mov_b32_e32 v3, v5
	v_pk_add_f32 v[48:49], v[0:1], v[2:3] neg_lo:[0,1] neg_hi:[0,1]
	v_mov_b32_e32 v3, v11
	v_mov_b32_e32 v0, v17
	v_mov_b32_e32 v15, v25
	v_pk_add_f32 v[0:1], v[2:3], v[0:1] neg_lo:[0,1] neg_hi:[0,1]
	v_pk_add_f32 v[12:13], v[12:13], v[14:15] neg_lo:[0,1] neg_hi:[0,1]
	v_pk_mul_f32 v[8:9], v[8:9], s[6:7]
	v_pk_add_f32 v[26:27], v[94:95], v[22:23]
	v_pk_mul_f32 v[0:1], v[0:1], s[24:25]
	v_pk_mul_f32 v[14:15], v[12:13], s[20:21]
	v_pk_add_f32 v[20:21], v[20:21], v[18:19]
	v_pk_fma_f32 v[12:13], v[12:13], s[20:21], v[8:9]
	v_pk_fma_f32 v[2:3], v[48:49], s[26:27], v[0:1]
	v_pk_fma_f32 v[22:23], v[22:23], s[22:23], v[26:27] op_sel_hi:[1,0,1]
	v_pk_fma_f32 v[12:13], v[20:21], s[0:1], v[12:13] op_sel_hi:[1,0,1]
	v_pk_add_f32 v[2:3], v[2:3], v[22:23]
	v_pk_mul_f32 v[50:51], v[48:49], s[26:27]
	v_pk_add_f32 v[48:49], v[2:3], v[12:13]
	v_pk_add_f32 v[2:3], v[2:3], v[12:13] neg_lo:[0,1] neg_hi:[0,1]
	v_mov_b32_e32 v12, v48
	v_mov_b32_e32 v13, v3
	v_mov_b32_e32 v4, v17
	v_mov_b32_e32 v10, v7
	ds_write2_b64 v52, v[26:27], v[12:13] offset1:17
	v_pk_add_f32 v[12:13], v[24:25], v[18:19] neg_lo:[0,1] neg_hi:[0,1]
	v_mov_b32_e32 v18, v14
	v_mov_b32_e32 v19, v9
	v_pk_add_f32 v[4:5], v[4:5], v[10:11] neg_lo:[0,1] neg_hi:[0,1]
	v_mov_b32_e32 v6, v50
	v_mov_b32_e32 v7, v1
	;; [unrolled: 1-line block ×4, first 2 shown]
	v_pk_fma_f32 v[18:19], v[12:13], s[16:17], v[18:19] op_sel_hi:[1,0,1] neg_lo:[1,0,1] neg_hi:[1,0,1]
	v_pk_fma_f32 v[6:7], v[4:5], s[18:19], v[6:7] op_sel_hi:[1,0,1] neg_lo:[1,0,1] neg_hi:[1,0,1]
	;; [unrolled: 1-line block ×4, first 2 shown]
	v_pk_fma_f32 v[18:19], v[20:21], s[0:1], v[18:19] op_sel_hi:[1,0,1]
	v_pk_add_f32 v[6:7], v[6:7], v[22:23]
	v_pk_fma_f32 v[8:9], v[20:21], s[0:1], v[8:9] op_sel_hi:[1,0,1]
	v_pk_add_f32 v[0:1], v[0:1], v[22:23]
	v_pk_add_f32 v[10:11], v[6:7], v[18:19]
	v_pk_add_f32 v[6:7], v[6:7], v[18:19] neg_lo:[0,1] neg_hi:[0,1]
	v_pk_add_f32 v[4:5], v[0:1], v[8:9] neg_lo:[0,1] neg_hi:[0,1]
	v_pk_add_f32 v[0:1], v[0:1], v[8:9]
	v_mov_b32_e32 v16, v10
	v_mov_b32_e32 v17, v7
	;; [unrolled: 1-line block ×7, first 2 shown]
	ds_write2_b64 v52, v[16:17], v[8:9] offset0:34 offset1:51
	ds_write2_b64 v52, v[0:1], v[6:7] offset0:68 offset1:85
	ds_write_b64 v52, v[2:3] offset:816
.LBB0_21:
	s_or_b64 exec, exec, s[28:29]
	s_waitcnt lgkmcnt(0)
	s_barrier
	ds_read2_b64 v[6:9], v88 offset0:119 offset1:238
	ds_read_b64 v[0:1], v88
	v_add_u32_e32 v5, 0x800, v88
	ds_read2_b64 v[10:13], v5 offset0:101 offset1:220
	v_add_u32_e32 v4, 0x1000, v88
	s_waitcnt lgkmcnt(2)
	v_pk_mul_f32 v[26:27], v[30:31], v[8:9]
	ds_read2_b64 v[14:17], v4 offset0:83 offset1:202
	v_pk_fma_f32 v[30:31], v[80:81], v[8:9], v[26:27] op_sel:[0,0,1] op_sel_hi:[1,1,0]
	v_pk_fma_f32 v[8:9], v[80:81], v[8:9], v[26:27] op_sel:[0,0,1] op_sel_hi:[1,1,0] neg_lo:[0,0,1] neg_hi:[0,0,1]
	v_add_u32_e32 v3, 0x1800, v88
	v_mov_b32_e32 v31, v9
	s_waitcnt lgkmcnt(1)
	v_pk_mul_f32 v[8:9], v[44:45], v[10:11]
	ds_read2_b64 v[18:21], v3 offset0:65 offset1:184
	v_pk_fma_f32 v[26:27], v[78:79], v[10:11], v[8:9] op_sel:[0,0,1] op_sel_hi:[1,1,0]
	v_pk_fma_f32 v[8:9], v[78:79], v[10:11], v[8:9] op_sel:[0,0,1] op_sel_hi:[1,1,0] neg_lo:[0,0,1] neg_hi:[0,0,1]
	v_add_u32_e32 v2, 0x2000, v88
	v_mov_b32_e32 v27, v9
	v_pk_mul_f32 v[8:9], v[46:47], v[12:13]
	ds_read2_b64 v[22:25], v2 offset0:47 offset1:166
	v_pk_fma_f32 v[10:11], v[76:77], v[12:13], v[8:9] op_sel:[0,0,1] op_sel_hi:[1,1,0]
	v_pk_fma_f32 v[8:9], v[76:77], v[12:13], v[8:9] op_sel:[0,0,1] op_sel_hi:[1,1,0] neg_lo:[0,0,1] neg_hi:[0,0,1]
	s_mov_b32 s18, 0xbf0a6770
	v_mov_b32_e32 v11, v9
	s_waitcnt lgkmcnt(2)
	v_pk_mul_f32 v[8:9], v[40:41], v[14:15]
	s_mov_b32 s0, 0x3f575c64
	v_pk_fma_f32 v[12:13], v[74:75], v[14:15], v[8:9] op_sel:[0,0,1] op_sel_hi:[1,1,0]
	v_pk_fma_f32 v[8:9], v[74:75], v[14:15], v[8:9] op_sel:[0,0,1] op_sel_hi:[1,1,0] neg_lo:[0,0,1] neg_hi:[0,0,1]
	s_mov_b32 s28, 0xbf68dda4
	v_mov_b32_e32 v13, v9
	v_pk_mul_f32 v[8:9], v[42:43], v[16:17]
	s_movk_i32 s3, 0x2000
	v_pk_fma_f32 v[14:15], v[72:73], v[16:17], v[8:9] op_sel:[0,0,1] op_sel_hi:[1,1,0]
	v_pk_fma_f32 v[8:9], v[72:73], v[16:17], v[8:9] op_sel:[0,0,1] op_sel_hi:[1,1,0] neg_lo:[0,0,1] neg_hi:[0,0,1]
	s_mov_b32 s2, 0x3ed4b147
	v_mov_b32_e32 v15, v9
	s_waitcnt lgkmcnt(1)
	v_pk_mul_f32 v[8:9], v[32:33], v[18:19]
	s_mov_b32 s16, 0xbf7d64f0
	v_pk_fma_f32 v[16:17], v[70:71], v[18:19], v[8:9] op_sel:[0,0,1] op_sel_hi:[1,1,0]
	v_pk_fma_f32 v[8:9], v[70:71], v[18:19], v[8:9] op_sel:[0,0,1] op_sel_hi:[1,1,0] neg_lo:[0,0,1] neg_hi:[0,0,1]
	s_movk_i32 s7, 0x1000
	v_mov_b32_e32 v17, v9
	v_pk_mul_f32 v[8:9], v[34:35], v[20:21]
	s_mov_b32 s6, 0xbe11bafb
	v_pk_fma_f32 v[18:19], v[68:69], v[20:21], v[8:9] op_sel:[0,0,1] op_sel_hi:[1,1,0]
	v_pk_fma_f32 v[8:9], v[68:69], v[20:21], v[8:9] op_sel:[0,0,1] op_sel_hi:[1,1,0] neg_lo:[0,0,1] neg_hi:[0,0,1]
	s_mov_b32 s22, 0xbf4178ce
	v_mov_b32_e32 v19, v9
	s_waitcnt lgkmcnt(0)
	v_pk_mul_f32 v[8:9], v[36:37], v[22:23]
	s_mov_b32 s20, 0xbf27a4f4
	v_pk_fma_f32 v[20:21], v[58:59], v[22:23], v[8:9] op_sel:[0,0,1] op_sel_hi:[1,1,0]
	v_pk_fma_f32 v[8:9], v[58:59], v[22:23], v[8:9] op_sel:[0,0,1] op_sel_hi:[1,1,0] neg_lo:[0,0,1] neg_hi:[0,0,1]
	s_mov_b32 s26, 0xbe903f40
	v_mov_b32_e32 v21, v9
	v_pk_mul_f32 v[8:9], v[38:39], v[24:25]
	v_pk_add_f32 v[34:35], v[30:31], v[20:21]
	v_pk_fma_f32 v[22:23], v[56:57], v[24:25], v[8:9] op_sel:[0,0,1] op_sel_hi:[1,1,0]
	v_pk_fma_f32 v[8:9], v[56:57], v[24:25], v[8:9] op_sel:[0,0,1] op_sel_hi:[1,1,0] neg_lo:[0,0,1] neg_hi:[0,0,1]
	s_mov_b32 s24, 0xbf75a155
	v_mov_b32_e32 v23, v9
	v_pk_mul_f32 v[8:9], v[28:29], v[6:7] op_sel:[1,0]
	s_mov_b32 s30, 0x3f7d64f0
	v_pk_fma_f32 v[24:25], v[28:29], v[6:7], v[8:9] op_sel:[0,0,1] op_sel_hi:[1,1,0]
	v_pk_fma_f32 v[6:7], v[28:29], v[6:7], v[8:9] op_sel:[0,0,1] op_sel_hi:[0,1,0] neg_lo:[0,0,1] neg_hi:[0,0,1]
	v_mov_b32_e32 v25, v7
	v_pk_add_f32 v[6:7], v[0:1], v[24:25]
	v_pk_add_f32 v[28:29], v[24:25], v[22:23]
	;; [unrolled: 1-line block ×3, first 2 shown]
	s_mov_b32 s34, 0x3f0a6770
	v_pk_add_f32 v[6:7], v[6:7], v[26:27]
	s_nop 0
	v_pk_add_f32 v[6:7], v[6:7], v[10:11]
	s_nop 0
	;; [unrolled: 2-line block ×6, first 2 shown]
	v_pk_add_f32 v[6:7], v[6:7], v[20:21]
	v_pk_add_f32 v[20:21], v[30:31], v[20:21] neg_lo:[0,1] neg_hi:[0,1]
	v_pk_add_f32 v[6:7], v[6:7], v[22:23]
	v_pk_add_f32 v[22:23], v[24:25], v[22:23] neg_lo:[0,1] neg_hi:[0,1]
	v_pk_mul_f32 v[30:31], v[20:21], s[28:29] op_sel_hi:[1,0]
	v_pk_mul_f32 v[8:9], v[22:23], s[18:19] op_sel_hi:[1,0]
	v_pk_fma_f32 v[36:37], v[34:35], s[2:3], v[30:31] op_sel:[0,0,1] op_sel_hi:[1,0,0]
	v_pk_fma_f32 v[24:25], v[28:29], s[0:1], v[8:9] op_sel:[0,0,1] op_sel_hi:[1,0,0]
	v_pk_fma_f32 v[32:33], v[28:29], s[0:1], v[8:9] op_sel:[0,0,1] op_sel_hi:[1,0,0] neg_lo:[0,0,1] neg_hi:[0,0,1]
	v_mov_b32_e32 v8, v24
	v_mov_b32_e32 v9, v33
	v_pk_fma_f32 v[30:31], v[34:35], s[2:3], v[30:31] op_sel:[0,0,1] op_sel_hi:[1,0,0] neg_lo:[0,0,1] neg_hi:[0,0,1]
	v_pk_add_f32 v[8:9], v[0:1], v[8:9]
	v_mov_b32_e32 v38, v36
	v_mov_b32_e32 v39, v31
	v_pk_add_f32 v[8:9], v[38:39], v[8:9]
	v_pk_add_f32 v[38:39], v[26:27], v[18:19]
	v_pk_add_f32 v[18:19], v[26:27], v[18:19] neg_lo:[0,1] neg_hi:[0,1]
	v_pk_mul_f32 v[52:53], v[20:21], s[22:23] op_sel_hi:[1,0]
	v_pk_mul_f32 v[26:27], v[18:19], s[16:17] op_sel_hi:[1,0]
	v_pk_fma_f32 v[54:55], v[34:35], s[20:21], v[52:53] op_sel:[0,0,1] op_sel_hi:[1,0,0]
	v_pk_fma_f32 v[40:41], v[38:39], s[6:7], v[26:27] op_sel:[0,0,1] op_sel_hi:[1,0,0]
	v_pk_fma_f32 v[26:27], v[38:39], s[6:7], v[26:27] op_sel:[0,0,1] op_sel_hi:[1,0,0] neg_lo:[0,0,1] neg_hi:[0,0,1]
	v_mov_b32_e32 v42, v40
	v_mov_b32_e32 v43, v27
	v_pk_add_f32 v[8:9], v[42:43], v[8:9]
	v_pk_add_f32 v[42:43], v[10:11], v[16:17]
	v_pk_add_f32 v[10:11], v[10:11], v[16:17] neg_lo:[0,1] neg_hi:[0,1]
	v_pk_fma_f32 v[52:53], v[34:35], s[20:21], v[52:53] op_sel:[0,0,1] op_sel_hi:[1,0,0] neg_lo:[0,0,1] neg_hi:[0,0,1]
	v_pk_mul_f32 v[16:17], v[10:11], s[22:23] op_sel_hi:[1,0]
	v_mov_b32_e32 v56, v54
	v_pk_fma_f32 v[44:45], v[42:43], s[20:21], v[16:17] op_sel:[0,0,1] op_sel_hi:[1,0,0]
	v_pk_fma_f32 v[16:17], v[42:43], s[20:21], v[16:17] op_sel:[0,0,1] op_sel_hi:[1,0,0] neg_lo:[0,0,1] neg_hi:[0,0,1]
	v_mov_b32_e32 v46, v44
	v_mov_b32_e32 v47, v17
	v_pk_add_f32 v[8:9], v[46:47], v[8:9]
	v_pk_add_f32 v[46:47], v[12:13], v[14:15]
	v_pk_add_f32 v[12:13], v[12:13], v[14:15] neg_lo:[0,1] neg_hi:[0,1]
	v_mov_b32_e32 v57, v53
	v_pk_mul_f32 v[14:15], v[12:13], s[26:27] op_sel_hi:[1,0]
	v_pk_mul_f32 v[94:95], v[20:21], s[30:31] op_sel_hi:[1,0]
	v_pk_fma_f32 v[48:49], v[46:47], s[24:25], v[14:15] op_sel:[0,0,1] op_sel_hi:[1,0,0]
	v_pk_fma_f32 v[14:15], v[46:47], s[24:25], v[14:15] op_sel:[0,0,1] op_sel_hi:[1,0,0] neg_lo:[0,0,1] neg_hi:[0,0,1]
	v_mov_b32_e32 v50, v48
	v_mov_b32_e32 v51, v15
	v_pk_add_f32 v[8:9], v[50:51], v[8:9]
	ds_write_b64 v88, v[6:7]
	ds_write_b64 v88, v[8:9] offset:952
	v_pk_mul_f32 v[6:7], v[22:23], s[28:29] op_sel_hi:[1,0]
	s_mov_b32 s28, 0x3e903f40
	v_pk_fma_f32 v[8:9], v[28:29], s[2:3], v[6:7] op_sel:[0,0,1] op_sel_hi:[1,0,0]
	v_pk_fma_f32 v[50:51], v[28:29], s[2:3], v[6:7] op_sel:[0,0,1] op_sel_hi:[1,0,0] neg_lo:[0,0,1] neg_hi:[0,0,1]
	v_mov_b32_e32 v6, v8
	v_mov_b32_e32 v7, v51
	v_pk_add_f32 v[6:7], v[0:1], v[6:7]
	v_pk_mul_f32 v[74:75], v[20:21], s[28:29] op_sel_hi:[1,0]
	v_pk_add_f32 v[6:7], v[56:57], v[6:7]
	v_pk_mul_f32 v[56:57], v[18:19], s[28:29] op_sel_hi:[1,0]
	v_pk_fma_f32 v[76:77], v[34:35], s[24:25], v[74:75] op_sel:[0,0,1] op_sel_hi:[1,0,0]
	v_pk_fma_f32 v[58:59], v[38:39], s[24:25], v[56:57] op_sel:[0,0,1] op_sel_hi:[1,0,0]
	v_pk_fma_f32 v[56:57], v[38:39], s[24:25], v[56:57] op_sel:[0,0,1] op_sel_hi:[1,0,0] neg_lo:[0,0,1] neg_hi:[0,0,1]
	v_mov_b32_e32 v60, v58
	v_mov_b32_e32 v61, v57
	v_pk_add_f32 v[6:7], v[60:61], v[6:7]
	v_pk_mul_f32 v[60:61], v[10:11], s[30:31] op_sel_hi:[1,0]
	v_pk_fma_f32 v[74:75], v[34:35], s[24:25], v[74:75] op_sel:[0,0,1] op_sel_hi:[1,0,0] neg_lo:[0,0,1] neg_hi:[0,0,1]
	v_pk_fma_f32 v[62:63], v[42:43], s[6:7], v[60:61] op_sel:[0,0,1] op_sel_hi:[1,0,0]
	v_pk_fma_f32 v[60:61], v[42:43], s[6:7], v[60:61] op_sel:[0,0,1] op_sel_hi:[1,0,0] neg_lo:[0,0,1] neg_hi:[0,0,1]
	v_mov_b32_e32 v64, v62
	v_mov_b32_e32 v65, v61
	v_pk_add_f32 v[6:7], v[64:65], v[6:7]
	v_pk_mul_f32 v[64:65], v[12:13], s[34:35] op_sel_hi:[1,0]
	v_mov_b32_e32 v78, v76
	v_pk_fma_f32 v[66:67], v[46:47], s[0:1], v[64:65] op_sel:[0,0,1] op_sel_hi:[1,0,0]
	v_pk_fma_f32 v[64:65], v[46:47], s[0:1], v[64:65] op_sel:[0,0,1] op_sel_hi:[1,0,0] neg_lo:[0,0,1] neg_hi:[0,0,1]
	v_mov_b32_e32 v68, v66
	v_mov_b32_e32 v69, v65
	v_pk_add_f32 v[6:7], v[68:69], v[6:7]
	v_pk_mul_f32 v[68:69], v[22:23], s[16:17] op_sel_hi:[1,0]
	v_mov_b32_e32 v79, v75
	v_pk_fma_f32 v[70:71], v[28:29], s[6:7], v[68:69] op_sel:[0,0,1] op_sel_hi:[1,0,0]
	v_pk_fma_f32 v[68:69], v[28:29], s[6:7], v[68:69] op_sel:[0,0,1] op_sel_hi:[1,0,0] neg_lo:[0,0,1] neg_hi:[0,0,1]
	v_mov_b32_e32 v72, v70
	v_mov_b32_e32 v73, v69
	v_pk_add_f32 v[72:73], v[0:1], v[72:73]
	s_mov_b32 s28, 0x3f68dda4
	v_pk_add_f32 v[72:73], v[78:79], v[72:73]
	v_pk_mul_f32 v[78:79], v[18:19], s[28:29] op_sel_hi:[1,0]
	v_add_u32_e32 v8, 0x400, v88
	v_pk_fma_f32 v[80:81], v[38:39], s[2:3], v[78:79] op_sel:[0,0,1] op_sel_hi:[1,0,0]
	v_pk_fma_f32 v[78:79], v[38:39], s[2:3], v[78:79] op_sel:[0,0,1] op_sel_hi:[1,0,0] neg_lo:[0,0,1] neg_hi:[0,0,1]
	v_mov_b32_e32 v82, v80
	v_mov_b32_e32 v83, v79
	v_pk_add_f32 v[72:73], v[82:83], v[72:73]
	v_pk_mul_f32 v[82:83], v[10:11], s[18:19] op_sel_hi:[1,0]
	v_pk_fma_f32 v[96:97], v[34:35], s[6:7], v[94:95] op_sel:[0,0,1] op_sel_hi:[1,0,0]
	v_pk_fma_f32 v[84:85], v[42:43], s[0:1], v[82:83] op_sel:[0,0,1] op_sel_hi:[1,0,0]
	v_pk_fma_f32 v[82:83], v[42:43], s[0:1], v[82:83] op_sel:[0,0,1] op_sel_hi:[1,0,0] neg_lo:[0,0,1] neg_hi:[0,0,1]
	v_mov_b32_e32 v86, v84
	v_mov_b32_e32 v87, v83
	v_pk_add_f32 v[72:73], v[86:87], v[72:73]
	v_pk_mul_f32 v[86:87], v[12:13], s[22:23] op_sel_hi:[1,0]
	v_pk_fma_f32 v[94:95], v[34:35], s[6:7], v[94:95] op_sel:[0,0,1] op_sel_hi:[1,0,0] neg_lo:[0,0,1] neg_hi:[0,0,1]
	v_pk_fma_f32 v[90:91], v[46:47], s[20:21], v[86:87] op_sel:[0,0,1] op_sel_hi:[1,0,0]
	v_pk_fma_f32 v[86:87], v[46:47], s[20:21], v[86:87] op_sel:[0,0,1] op_sel_hi:[1,0,0] neg_lo:[0,0,1] neg_hi:[0,0,1]
	v_mov_b32_e32 v92, v90
	v_mov_b32_e32 v93, v87
	v_pk_add_f32 v[72:73], v[92:93], v[72:73]
	ds_write2_b64 v8, v[6:7], v[72:73] offset0:110 offset1:229
	v_pk_mul_f32 v[6:7], v[22:23], s[22:23] op_sel_hi:[1,0]
	v_mov_b32_e32 v98, v96
	v_pk_fma_f32 v[72:73], v[28:29], s[20:21], v[6:7] op_sel:[0,0,1] op_sel_hi:[1,0,0]
	v_pk_fma_f32 v[6:7], v[28:29], s[20:21], v[6:7] op_sel:[0,0,1] op_sel_hi:[1,0,0] neg_lo:[0,0,1] neg_hi:[0,0,1]
	v_mov_b32_e32 v92, v72
	v_mov_b32_e32 v93, v7
	v_pk_add_f32 v[92:93], v[0:1], v[92:93]
	v_mov_b32_e32 v99, v95
	v_pk_add_f32 v[92:93], v[98:99], v[92:93]
	v_pk_mul_f32 v[98:99], v[18:19], s[18:19] op_sel_hi:[1,0]
	v_pk_mul_f32 v[22:23], v[22:23], s[26:27] op_sel_hi:[1,0]
	v_pk_fma_f32 v[100:101], v[38:39], s[0:1], v[98:99] op_sel:[0,0,1] op_sel_hi:[1,0,0]
	v_pk_fma_f32 v[98:99], v[38:39], s[0:1], v[98:99] op_sel:[0,0,1] op_sel_hi:[1,0,0] neg_lo:[0,0,1] neg_hi:[0,0,1]
	v_mov_b32_e32 v102, v100
	v_mov_b32_e32 v103, v99
	v_pk_add_f32 v[92:93], v[102:103], v[92:93]
	v_pk_mul_f32 v[102:103], v[10:11], s[26:27] op_sel_hi:[1,0]
	v_pk_mul_f32 v[20:21], v[20:21], s[34:35] op_sel_hi:[1,0]
	v_pk_fma_f32 v[104:105], v[42:43], s[24:25], v[102:103] op_sel:[0,0,1] op_sel_hi:[1,0,0]
	v_pk_fma_f32 v[102:103], v[42:43], s[24:25], v[102:103] op_sel:[0,0,1] op_sel_hi:[1,0,0] neg_lo:[0,0,1] neg_hi:[0,0,1]
	v_mov_b32_e32 v106, v104
	v_mov_b32_e32 v107, v103
	v_pk_add_f32 v[92:93], v[106:107], v[92:93]
	v_pk_mul_f32 v[106:107], v[12:13], s[28:29] op_sel_hi:[1,0]
	v_pk_fma_f32 v[112:113], v[34:35], s[0:1], v[20:21] op_sel:[0,0,1] op_sel_hi:[1,0,0]
	v_pk_fma_f32 v[108:109], v[46:47], s[2:3], v[106:107] op_sel:[0,0,1] op_sel_hi:[1,0,0]
	v_pk_fma_f32 v[106:107], v[46:47], s[2:3], v[106:107] op_sel:[0,0,1] op_sel_hi:[1,0,0] neg_lo:[0,0,1] neg_hi:[0,0,1]
	v_mov_b32_e32 v110, v108
	v_mov_b32_e32 v111, v107
	v_pk_add_f32 v[92:93], v[110:111], v[92:93]
	v_pk_fma_f32 v[110:111], v[28:29], s[24:25], v[22:23] op_sel:[0,0,1] op_sel_hi:[1,0,0]
	v_pk_fma_f32 v[22:23], v[28:29], s[24:25], v[22:23] op_sel:[0,0,1] op_sel_hi:[1,0,0] neg_lo:[0,0,1] neg_hi:[0,0,1]
	v_mov_b32_e32 v28, v110
	v_mov_b32_e32 v29, v23
	v_pk_fma_f32 v[20:21], v[34:35], s[0:1], v[20:21] op_sel:[0,0,1] op_sel_hi:[1,0,0] neg_lo:[0,0,1] neg_hi:[0,0,1]
	v_pk_add_f32 v[28:29], v[0:1], v[28:29]
	v_mov_b32_e32 v34, v112
	v_mov_b32_e32 v35, v21
	v_pk_mul_f32 v[18:19], v[18:19], s[22:23] op_sel_hi:[1,0]
	v_pk_add_f32 v[28:29], v[34:35], v[28:29]
	v_pk_fma_f32 v[34:35], v[38:39], s[20:21], v[18:19] op_sel:[0,0,1] op_sel_hi:[1,0,0]
	v_pk_fma_f32 v[18:19], v[38:39], s[20:21], v[18:19] op_sel:[0,0,1] op_sel_hi:[1,0,0] neg_lo:[0,0,1] neg_hi:[0,0,1]
	v_mov_b32_e32 v38, v34
	v_mov_b32_e32 v39, v19
	v_pk_mul_f32 v[10:11], v[10:11], s[28:29] op_sel_hi:[1,0]
	v_pk_add_f32 v[28:29], v[38:39], v[28:29]
	v_pk_fma_f32 v[38:39], v[42:43], s[2:3], v[10:11] op_sel:[0,0,1] op_sel_hi:[1,0,0]
	v_pk_fma_f32 v[10:11], v[42:43], s[2:3], v[10:11] op_sel:[0,0,1] op_sel_hi:[1,0,0] neg_lo:[0,0,1] neg_hi:[0,0,1]
	;; [unrolled: 6-line block ×3, first 2 shown]
	v_mov_b32_e32 v46, v42
	v_mov_b32_e32 v47, v13
	v_pk_add_f32 v[28:29], v[46:47], v[28:29]
	v_add_u32_e32 v7, 0xc00, v88
	ds_write2_b64 v7, v[92:93], v[28:29] offset0:92 offset1:211
	v_mov_b32_e32 v23, v111
	v_mov_b32_e32 v7, v73
	v_pk_add_f32 v[22:23], v[0:1], v[22:23]
	v_mov_b32_e32 v21, v113
	v_pk_add_f32 v[6:7], v[0:1], v[6:7]
	;; [unrolled: 2-line block ×9, first 2 shown]
	v_pk_add_f32 v[12:13], v[106:107], v[6:7]
	v_add_u32_e32 v7, 0x1400, v88
	v_mov_b32_e32 v69, v71
	v_mov_b32_e32 v51, v9
	;; [unrolled: 1-line block ×3, first 2 shown]
	ds_write2_b64 v7, v[10:11], v[12:13] offset0:74 offset1:193
	v_pk_add_f32 v[10:11], v[0:1], v[68:69]
	v_mov_b32_e32 v75, v77
	v_pk_add_f32 v[12:13], v[0:1], v[50:51]
	v_mov_b32_e32 v53, v55
	;; [unrolled: 2-line block ×12, first 2 shown]
	v_pk_add_f32 v[10:11], v[86:87], v[10:11]
	v_pk_add_f32 v[12:13], v[64:65], v[12:13]
	v_add_u32_e32 v6, 0x1c00, v88
	v_pk_add_f32 v[0:1], v[14:15], v[0:1]
	ds_write2_b64 v6, v[10:11], v[12:13] offset0:56 offset1:175
	ds_write_b64 v88, v[0:1] offset:9520
	s_waitcnt lgkmcnt(0)
	s_barrier
	s_and_b64 exec, exec, s[4:5]
	s_cbranch_execz .LBB0_23
; %bb.22:
	global_load_dwordx2 v[0:1], v88, s[12:13]
	ds_read_b64 v[10:11], v88
	v_accvgpr_read_b32 v22, a0
	v_mad_u64_u32 v[14:15], s[0:1], s10, v22, 0
	v_mad_u64_u32 v[16:17], s[4:5], s8, v89, 0
	v_mov_b32_e32 v18, v15
	s_mov_b32 s0, 0xd336f476
	v_mov_b32_e32 v20, v17
	v_mad_u64_u32 v[18:19], s[4:5], s11, v22, v[18:19]
	v_mov_b32_e32 v12, s14
	v_mov_b32_e32 v13, s15
	s_mov_b32 s1, 0x3f490868
	v_mad_u64_u32 v[20:21], s[4:5], s9, v89, v[20:21]
	v_mov_b32_e32 v15, v18
	v_mov_b32_e32 v17, v20
	v_lshl_add_u64 v[12:13], v[14:15], 3, v[12:13]
	v_lshl_add_u64 v[14:15], v[16:17], 3, v[12:13]
	v_mov_b32_e32 v18, 0x268
	s_mul_i32 s2, s9, 0x268
	v_mov_b32_e32 v89, 0
	s_waitcnt vmcnt(0) lgkmcnt(0)
	v_mul_f32_e32 v9, v11, v1
	v_mul_f32_e32 v1, v10, v1
	v_fmac_f32_e32 v9, v10, v0
	v_fma_f32 v10, v0, v11, -v1
	v_cvt_f64_f32_e32 v[0:1], v9
	v_cvt_f64_f32_e32 v[10:11], v10
	v_mul_f64 v[0:1], v[0:1], s[0:1]
	v_mul_f64 v[10:11], v[10:11], s[0:1]
	v_cvt_f32_f64_e32 v0, v[0:1]
	v_cvt_f32_f64_e32 v1, v[10:11]
	global_store_dwordx2 v[14:15], v[0:1], off
	global_load_dwordx2 v[0:1], v88, s[12:13] offset:616
	ds_read2_b64 v[10:13], v88 offset0:77 offset1:154
	v_mad_u64_u32 v[14:15], s[4:5], s8, v18, v[14:15]
	v_add_u32_e32 v15, s2, v15
	s_waitcnt vmcnt(0) lgkmcnt(0)
	v_mul_f32_e32 v9, v11, v1
	v_mul_f32_e32 v1, v10, v1
	v_fmac_f32_e32 v9, v10, v0
	v_fma_f32 v10, v0, v11, -v1
	v_cvt_f64_f32_e32 v[0:1], v9
	v_cvt_f64_f32_e32 v[10:11], v10
	v_mul_f64 v[0:1], v[0:1], s[0:1]
	v_mul_f64 v[10:11], v[10:11], s[0:1]
	v_cvt_f32_f64_e32 v0, v[0:1]
	v_cvt_f32_f64_e32 v1, v[10:11]
	global_store_dwordx2 v[14:15], v[0:1], off
	global_load_dwordx2 v[0:1], v88, s[12:13] offset:1232
	v_mad_u64_u32 v[14:15], s[4:5], s8, v18, v[14:15]
	v_add_u32_e32 v15, s2, v15
	s_waitcnt vmcnt(0)
	v_mul_f32_e32 v9, v13, v1
	v_mul_f32_e32 v1, v12, v1
	v_fmac_f32_e32 v9, v12, v0
	v_fma_f32 v10, v0, v13, -v1
	v_cvt_f64_f32_e32 v[0:1], v9
	v_cvt_f64_f32_e32 v[10:11], v10
	v_mul_f64 v[0:1], v[0:1], s[0:1]
	v_mul_f64 v[10:11], v[10:11], s[0:1]
	v_cvt_f32_f64_e32 v0, v[0:1]
	v_cvt_f32_f64_e32 v1, v[10:11]
	global_store_dwordx2 v[14:15], v[0:1], off
	global_load_dwordx2 v[0:1], v88, s[12:13] offset:1848
	ds_read2_b64 v[8:11], v8 offset0:103 offset1:180
	v_mad_u64_u32 v[12:13], s[4:5], s8, v18, v[14:15]
	v_add_u32_e32 v13, s2, v13
	s_waitcnt vmcnt(0) lgkmcnt(0)
	v_mul_f32_e32 v14, v9, v1
	v_mul_f32_e32 v1, v8, v1
	v_fmac_f32_e32 v14, v8, v0
	v_fma_f32 v8, v0, v9, -v1
	v_cvt_f64_f32_e32 v[0:1], v14
	v_cvt_f64_f32_e32 v[8:9], v8
	v_mul_f64 v[0:1], v[0:1], s[0:1]
	v_mul_f64 v[8:9], v[8:9], s[0:1]
	v_cvt_f32_f64_e32 v0, v[0:1]
	v_cvt_f32_f64_e32 v1, v[8:9]
	global_store_dwordx2 v[12:13], v[0:1], off
	global_load_dwordx2 v[0:1], v88, s[12:13] offset:2464
	v_mad_u64_u32 v[12:13], s[4:5], s8, v18, v[12:13]
	v_add_u32_e32 v13, s2, v13
	v_lshl_add_u64 v[14:15], s[12:13], 0, v[88:89]
	v_add_co_u32_e32 v16, vcc, s7, v14
	s_waitcnt vmcnt(0)
	v_mul_f32_e32 v8, v11, v1
	v_mul_f32_e32 v1, v10, v1
	v_fmac_f32_e32 v8, v10, v0
	v_fma_f32 v9, v0, v11, -v1
	v_cvt_f64_f32_e32 v[0:1], v8
	v_cvt_f64_f32_e32 v[8:9], v9
	v_mul_f64 v[0:1], v[0:1], s[0:1]
	v_mul_f64 v[8:9], v[8:9], s[0:1]
	v_cvt_f32_f64_e32 v0, v[0:1]
	v_cvt_f32_f64_e32 v1, v[8:9]
	global_store_dwordx2 v[12:13], v[0:1], off
	global_load_dwordx2 v[0:1], v88, s[12:13] offset:3080
	ds_read2_b64 v[8:11], v5 offset0:129 offset1:206
	v_mad_u64_u32 v[12:13], s[4:5], s8, v18, v[12:13]
	v_add_u32_e32 v13, s2, v13
	v_addc_co_u32_e32 v17, vcc, 0, v15, vcc
	s_waitcnt vmcnt(0) lgkmcnt(0)
	v_mul_f32_e32 v5, v9, v1
	v_mul_f32_e32 v1, v8, v1
	v_fmac_f32_e32 v5, v8, v0
	v_fma_f32 v8, v0, v9, -v1
	v_cvt_f64_f32_e32 v[0:1], v5
	v_cvt_f64_f32_e32 v[8:9], v8
	v_mul_f64 v[0:1], v[0:1], s[0:1]
	v_mul_f64 v[8:9], v[8:9], s[0:1]
	v_cvt_f32_f64_e32 v0, v[0:1]
	v_cvt_f32_f64_e32 v1, v[8:9]
	global_store_dwordx2 v[12:13], v[0:1], off
	global_load_dwordx2 v[0:1], v88, s[12:13] offset:3696
	v_mad_u64_u32 v[12:13], s[4:5], s8, v18, v[12:13]
	v_add_u32_e32 v13, s2, v13
	s_waitcnt vmcnt(0)
	v_mul_f32_e32 v5, v11, v1
	v_mul_f32_e32 v1, v10, v1
	v_fmac_f32_e32 v5, v10, v0
	v_fma_f32 v8, v0, v11, -v1
	v_cvt_f64_f32_e32 v[0:1], v5
	v_cvt_f64_f32_e32 v[8:9], v8
	v_mul_f64 v[0:1], v[0:1], s[0:1]
	v_mul_f64 v[8:9], v[8:9], s[0:1]
	v_cvt_f32_f64_e32 v0, v[0:1]
	v_cvt_f32_f64_e32 v1, v[8:9]
	global_store_dwordx2 v[12:13], v[0:1], off
	global_load_dwordx2 v[0:1], v[16:17], off offset:216
	ds_read2_b64 v[8:11], v4 offset0:27 offset1:104
	v_mad_u64_u32 v[4:5], s[4:5], s8, v18, v[12:13]
	v_add_u32_e32 v5, s2, v5
	s_waitcnt vmcnt(0) lgkmcnt(0)
	v_mul_f32_e32 v12, v9, v1
	v_mul_f32_e32 v1, v8, v1
	v_fmac_f32_e32 v12, v8, v0
	v_fma_f32 v8, v0, v9, -v1
	v_cvt_f64_f32_e32 v[0:1], v12
	v_cvt_f64_f32_e32 v[8:9], v8
	v_mul_f64 v[0:1], v[0:1], s[0:1]
	v_mul_f64 v[8:9], v[8:9], s[0:1]
	v_cvt_f32_f64_e32 v0, v[0:1]
	v_cvt_f32_f64_e32 v1, v[8:9]
	global_store_dwordx2 v[4:5], v[0:1], off
	global_load_dwordx2 v[0:1], v[16:17], off offset:832
	v_mad_u64_u32 v[4:5], s[4:5], s8, v18, v[4:5]
	v_add_u32_e32 v5, s2, v5
	s_waitcnt vmcnt(0)
	v_mul_f32_e32 v8, v11, v1
	v_mul_f32_e32 v1, v10, v1
	v_fmac_f32_e32 v8, v10, v0
	v_fma_f32 v9, v0, v11, -v1
	v_cvt_f64_f32_e32 v[0:1], v8
	v_cvt_f64_f32_e32 v[8:9], v9
	v_mul_f64 v[0:1], v[0:1], s[0:1]
	v_mul_f64 v[8:9], v[8:9], s[0:1]
	v_cvt_f32_f64_e32 v0, v[0:1]
	v_cvt_f32_f64_e32 v1, v[8:9]
	global_store_dwordx2 v[4:5], v[0:1], off
	global_load_dwordx2 v[0:1], v[16:17], off offset:1448
	ds_read2_b64 v[8:11], v7 offset0:53 offset1:130
	v_mad_u64_u32 v[4:5], s[4:5], s8, v18, v[4:5]
	v_add_u32_e32 v5, s2, v5
	s_waitcnt vmcnt(0) lgkmcnt(0)
	v_mul_f32_e32 v7, v9, v1
	v_mul_f32_e32 v1, v8, v1
	v_fmac_f32_e32 v7, v8, v0
	v_fma_f32 v8, v0, v9, -v1
	v_cvt_f64_f32_e32 v[0:1], v7
	v_cvt_f64_f32_e32 v[8:9], v8
	v_mul_f64 v[0:1], v[0:1], s[0:1]
	v_mul_f64 v[8:9], v[8:9], s[0:1]
	v_cvt_f32_f64_e32 v0, v[0:1]
	v_cvt_f32_f64_e32 v1, v[8:9]
	global_store_dwordx2 v[4:5], v[0:1], off
	global_load_dwordx2 v[0:1], v[16:17], off offset:2064
	;; [unrolled: 31-line block ×3, first 2 shown]
	v_mad_u64_u32 v[8:9], s[4:5], s8, v18, v[4:5]
	v_add_u32_e32 v9, s2, v9
	s_waitcnt vmcnt(0)
	v_mul_f32_e32 v3, v11, v1
	v_mul_f32_e32 v1, v10, v1
	v_fmac_f32_e32 v3, v10, v0
	v_fma_f32 v4, v0, v11, -v1
	v_cvt_f64_f32_e32 v[0:1], v3
	v_cvt_f64_f32_e32 v[4:5], v4
	v_mul_f64 v[0:1], v[0:1], s[0:1]
	v_mul_f64 v[4:5], v[4:5], s[0:1]
	v_cvt_f32_f64_e32 v0, v[0:1]
	v_cvt_f32_f64_e32 v1, v[4:5]
	global_store_dwordx2 v[8:9], v[0:1], off
	global_load_dwordx2 v[0:1], v[16:17], off offset:3912
	ds_read2_b64 v[4:7], v6 offset0:105 offset1:182
	v_mad_u64_u32 v[8:9], s[4:5], s8, v18, v[8:9]
	v_add_co_u32_e32 v10, vcc, s3, v14
	v_add_u32_e32 v9, s2, v9
	s_nop 0
	v_addc_co_u32_e32 v11, vcc, 0, v15, vcc
	s_waitcnt vmcnt(0) lgkmcnt(0)
	v_mul_f32_e32 v3, v5, v1
	v_mul_f32_e32 v1, v4, v1
	v_fmac_f32_e32 v3, v4, v0
	v_fma_f32 v4, v0, v5, -v1
	v_cvt_f64_f32_e32 v[0:1], v3
	v_cvt_f64_f32_e32 v[4:5], v4
	v_mul_f64 v[0:1], v[0:1], s[0:1]
	v_mul_f64 v[4:5], v[4:5], s[0:1]
	v_cvt_f32_f64_e32 v0, v[0:1]
	v_cvt_f32_f64_e32 v1, v[4:5]
	global_store_dwordx2 v[8:9], v[0:1], off
	global_load_dwordx2 v[0:1], v[10:11], off offset:432
	v_mad_u64_u32 v[4:5], s[4:5], s8, v18, v[8:9]
	v_add_u32_e32 v5, s2, v5
	s_waitcnt vmcnt(0)
	v_mul_f32_e32 v3, v7, v1
	v_mul_f32_e32 v1, v6, v1
	v_fmac_f32_e32 v3, v6, v0
	v_fma_f32 v6, v0, v7, -v1
	v_cvt_f64_f32_e32 v[0:1], v3
	v_cvt_f64_f32_e32 v[6:7], v6
	v_mul_f64 v[0:1], v[0:1], s[0:1]
	v_mul_f64 v[6:7], v[6:7], s[0:1]
	v_cvt_f32_f64_e32 v0, v[0:1]
	v_cvt_f32_f64_e32 v1, v[6:7]
	global_store_dwordx2 v[4:5], v[0:1], off
	global_load_dwordx2 v[6:7], v[10:11], off offset:1048
	ds_read2_b64 v[0:3], v2 offset0:131 offset1:208
	v_mad_u64_u32 v[4:5], s[4:5], s8, v18, v[4:5]
	v_add_u32_e32 v5, s2, v5
	s_waitcnt vmcnt(0) lgkmcnt(0)
	v_mul_f32_e32 v8, v1, v7
	v_mul_f32_e32 v7, v0, v7
	v_fmac_f32_e32 v8, v0, v6
	v_fma_f32 v6, v6, v1, -v7
	v_cvt_f64_f32_e32 v[0:1], v8
	v_cvt_f64_f32_e32 v[6:7], v6
	v_mul_f64 v[0:1], v[0:1], s[0:1]
	v_mul_f64 v[6:7], v[6:7], s[0:1]
	v_cvt_f32_f64_e32 v0, v[0:1]
	v_cvt_f32_f64_e32 v1, v[6:7]
	global_store_dwordx2 v[4:5], v[0:1], off
	global_load_dwordx2 v[0:1], v[10:11], off offset:1664
	v_mad_u64_u32 v[4:5], s[4:5], s8, v18, v[4:5]
	v_add_u32_e32 v5, s2, v5
	s_waitcnt vmcnt(0)
	v_mul_f32_e32 v6, v3, v1
	v_mul_f32_e32 v1, v2, v1
	v_fmac_f32_e32 v6, v2, v0
	v_fma_f32 v2, v0, v3, -v1
	v_cvt_f64_f32_e32 v[0:1], v6
	v_cvt_f64_f32_e32 v[2:3], v2
	v_mul_f64 v[0:1], v[0:1], s[0:1]
	v_mul_f64 v[2:3], v[2:3], s[0:1]
	v_cvt_f32_f64_e32 v0, v[0:1]
	v_cvt_f32_f64_e32 v1, v[2:3]
	global_store_dwordx2 v[4:5], v[0:1], off
.LBB0_23:
	s_endpgm
	.section	.rodata,"a",@progbits
	.p2align	6, 0x0
	.amdhsa_kernel bluestein_single_fwd_len1309_dim1_sp_op_CI_CI
		.amdhsa_group_segment_fixed_size 10472
		.amdhsa_private_segment_fixed_size 0
		.amdhsa_kernarg_size 104
		.amdhsa_user_sgpr_count 2
		.amdhsa_user_sgpr_dispatch_ptr 0
		.amdhsa_user_sgpr_queue_ptr 0
		.amdhsa_user_sgpr_kernarg_segment_ptr 1
		.amdhsa_user_sgpr_dispatch_id 0
		.amdhsa_user_sgpr_kernarg_preload_length 0
		.amdhsa_user_sgpr_kernarg_preload_offset 0
		.amdhsa_user_sgpr_private_segment_size 0
		.amdhsa_uses_dynamic_stack 0
		.amdhsa_enable_private_segment 0
		.amdhsa_system_sgpr_workgroup_id_x 1
		.amdhsa_system_sgpr_workgroup_id_y 0
		.amdhsa_system_sgpr_workgroup_id_z 0
		.amdhsa_system_sgpr_workgroup_info 0
		.amdhsa_system_vgpr_workitem_id 0
		.amdhsa_next_free_vgpr 282
		.amdhsa_next_free_sgpr 62
		.amdhsa_accum_offset 256
		.amdhsa_reserve_vcc 1
		.amdhsa_float_round_mode_32 0
		.amdhsa_float_round_mode_16_64 0
		.amdhsa_float_denorm_mode_32 3
		.amdhsa_float_denorm_mode_16_64 3
		.amdhsa_dx10_clamp 1
		.amdhsa_ieee_mode 1
		.amdhsa_fp16_overflow 0
		.amdhsa_tg_split 0
		.amdhsa_exception_fp_ieee_invalid_op 0
		.amdhsa_exception_fp_denorm_src 0
		.amdhsa_exception_fp_ieee_div_zero 0
		.amdhsa_exception_fp_ieee_overflow 0
		.amdhsa_exception_fp_ieee_underflow 0
		.amdhsa_exception_fp_ieee_inexact 0
		.amdhsa_exception_int_div_zero 0
	.end_amdhsa_kernel
	.text
.Lfunc_end0:
	.size	bluestein_single_fwd_len1309_dim1_sp_op_CI_CI, .Lfunc_end0-bluestein_single_fwd_len1309_dim1_sp_op_CI_CI
                                        ; -- End function
	.section	.AMDGPU.csdata,"",@progbits
; Kernel info:
; codeLenInByte = 21324
; NumSgprs: 68
; NumVgprs: 256
; NumAgprs: 26
; TotalNumVgprs: 282
; ScratchSize: 0
; MemoryBound: 0
; FloatMode: 240
; IeeeMode: 1
; LDSByteSize: 10472 bytes/workgroup (compile time only)
; SGPRBlocks: 8
; VGPRBlocks: 35
; NumSGPRsForWavesPerEU: 68
; NumVGPRsForWavesPerEU: 282
; AccumOffset: 256
; Occupancy: 1
; WaveLimiterHint : 1
; COMPUTE_PGM_RSRC2:SCRATCH_EN: 0
; COMPUTE_PGM_RSRC2:USER_SGPR: 2
; COMPUTE_PGM_RSRC2:TRAP_HANDLER: 0
; COMPUTE_PGM_RSRC2:TGID_X_EN: 1
; COMPUTE_PGM_RSRC2:TGID_Y_EN: 0
; COMPUTE_PGM_RSRC2:TGID_Z_EN: 0
; COMPUTE_PGM_RSRC2:TIDIG_COMP_CNT: 0
; COMPUTE_PGM_RSRC3_GFX90A:ACCUM_OFFSET: 63
; COMPUTE_PGM_RSRC3_GFX90A:TG_SPLIT: 0
	.text
	.p2alignl 6, 3212836864
	.fill 256, 4, 3212836864
	.type	__hip_cuid_538205c1d48d666b,@object ; @__hip_cuid_538205c1d48d666b
	.section	.bss,"aw",@nobits
	.globl	__hip_cuid_538205c1d48d666b
__hip_cuid_538205c1d48d666b:
	.byte	0                               ; 0x0
	.size	__hip_cuid_538205c1d48d666b, 1

	.ident	"AMD clang version 19.0.0git (https://github.com/RadeonOpenCompute/llvm-project roc-6.4.0 25133 c7fe45cf4b819c5991fe208aaa96edf142730f1d)"
	.section	".note.GNU-stack","",@progbits
	.addrsig
	.addrsig_sym __hip_cuid_538205c1d48d666b
	.amdgpu_metadata
---
amdhsa.kernels:
  - .agpr_count:     26
    .args:
      - .actual_access:  read_only
        .address_space:  global
        .offset:         0
        .size:           8
        .value_kind:     global_buffer
      - .actual_access:  read_only
        .address_space:  global
        .offset:         8
        .size:           8
        .value_kind:     global_buffer
      - .actual_access:  read_only
        .address_space:  global
        .offset:         16
        .size:           8
        .value_kind:     global_buffer
      - .actual_access:  read_only
        .address_space:  global
        .offset:         24
        .size:           8
        .value_kind:     global_buffer
      - .actual_access:  read_only
        .address_space:  global
        .offset:         32
        .size:           8
        .value_kind:     global_buffer
      - .offset:         40
        .size:           8
        .value_kind:     by_value
      - .address_space:  global
        .offset:         48
        .size:           8
        .value_kind:     global_buffer
      - .address_space:  global
        .offset:         56
        .size:           8
        .value_kind:     global_buffer
      - .address_space:  global
        .offset:         64
        .size:           8
        .value_kind:     global_buffer
      - .address_space:  global
        .offset:         72
        .size:           8
        .value_kind:     global_buffer
      - .offset:         80
        .size:           4
        .value_kind:     by_value
      - .address_space:  global
        .offset:         88
        .size:           8
        .value_kind:     global_buffer
      - .address_space:  global
        .offset:         96
        .size:           8
        .value_kind:     global_buffer
    .group_segment_fixed_size: 10472
    .kernarg_segment_align: 8
    .kernarg_segment_size: 104
    .language:       OpenCL C
    .language_version:
      - 2
      - 0
    .max_flat_workgroup_size: 119
    .name:           bluestein_single_fwd_len1309_dim1_sp_op_CI_CI
    .private_segment_fixed_size: 0
    .sgpr_count:     68
    .sgpr_spill_count: 0
    .symbol:         bluestein_single_fwd_len1309_dim1_sp_op_CI_CI.kd
    .uniform_work_group_size: 1
    .uses_dynamic_stack: false
    .vgpr_count:     282
    .vgpr_spill_count: 0
    .wavefront_size: 64
amdhsa.target:   amdgcn-amd-amdhsa--gfx950
amdhsa.version:
  - 1
  - 2
...

	.end_amdgpu_metadata
